;; amdgpu-corpus repo=ROCm/composable_kernel kind=compiled arch=gfx1201 opt=O3
	.amdgcn_target "amdgcn-amd-amdhsa--gfx1201"
	.amdhsa_code_object_version 6
	.section	.text._ZN2ckL12flush_icacheEv,"axG",@progbits,_ZN2ckL12flush_icacheEv,comdat
	.globl	_ZN2ckL12flush_icacheEv         ; -- Begin function _ZN2ckL12flush_icacheEv
	.p2align	8
	.type	_ZN2ckL12flush_icacheEv,@function
_ZN2ckL12flush_icacheEv:                ; @_ZN2ckL12flush_icacheEv
; %bb.0:
	;;#ASMSTART
	s_icache_inv 
	s_nop 0 
	s_nop 0 
	;; [unrolled: 1-line block ×16, first 2 shown]
	
	;;#ASMEND
	s_endpgm
	.section	.rodata,"a",@progbits
	.p2align	6, 0x0
	.amdhsa_kernel _ZN2ckL12flush_icacheEv
		.amdhsa_group_segment_fixed_size 0
		.amdhsa_private_segment_fixed_size 0
		.amdhsa_kernarg_size 0
		.amdhsa_user_sgpr_count 0
		.amdhsa_user_sgpr_dispatch_ptr 0
		.amdhsa_user_sgpr_queue_ptr 0
		.amdhsa_user_sgpr_kernarg_segment_ptr 0
		.amdhsa_user_sgpr_dispatch_id 0
		.amdhsa_user_sgpr_private_segment_size 0
		.amdhsa_wavefront_size32 1
		.amdhsa_uses_dynamic_stack 0
		.amdhsa_enable_private_segment 0
		.amdhsa_system_sgpr_workgroup_id_x 1
		.amdhsa_system_sgpr_workgroup_id_y 0
		.amdhsa_system_sgpr_workgroup_id_z 0
		.amdhsa_system_sgpr_workgroup_info 0
		.amdhsa_system_vgpr_workitem_id 0
		.amdhsa_next_free_vgpr 1
		.amdhsa_next_free_sgpr 1
		.amdhsa_reserve_vcc 0
		.amdhsa_float_round_mode_32 0
		.amdhsa_float_round_mode_16_64 0
		.amdhsa_float_denorm_mode_32 3
		.amdhsa_float_denorm_mode_16_64 3
		.amdhsa_fp16_overflow 0
		.amdhsa_workgroup_processor_mode 1
		.amdhsa_memory_ordered 1
		.amdhsa_forward_progress 1
		.amdhsa_inst_pref_size 1
		.amdhsa_round_robin_scheduling 0
		.amdhsa_exception_fp_ieee_invalid_op 0
		.amdhsa_exception_fp_denorm_src 0
		.amdhsa_exception_fp_ieee_div_zero 0
		.amdhsa_exception_fp_ieee_overflow 0
		.amdhsa_exception_fp_ieee_underflow 0
		.amdhsa_exception_fp_ieee_inexact 0
		.amdhsa_exception_int_div_zero 0
	.end_amdhsa_kernel
	.section	.text._ZN2ckL12flush_icacheEv,"axG",@progbits,_ZN2ckL12flush_icacheEv,comdat
.Lfunc_end0:
	.size	_ZN2ckL12flush_icacheEv, .Lfunc_end0-_ZN2ckL12flush_icacheEv
                                        ; -- End function
	.set _ZN2ckL12flush_icacheEv.num_vgpr, 0
	.set _ZN2ckL12flush_icacheEv.num_agpr, 0
	.set _ZN2ckL12flush_icacheEv.numbered_sgpr, 0
	.set _ZN2ckL12flush_icacheEv.num_named_barrier, 0
	.set _ZN2ckL12flush_icacheEv.private_seg_size, 0
	.set _ZN2ckL12flush_icacheEv.uses_vcc, 0
	.set _ZN2ckL12flush_icacheEv.uses_flat_scratch, 0
	.set _ZN2ckL12flush_icacheEv.has_dyn_sized_stack, 0
	.set _ZN2ckL12flush_icacheEv.has_recursion, 0
	.set _ZN2ckL12flush_icacheEv.has_indirect_call, 0
	.section	.AMDGPU.csdata,"",@progbits
; Kernel info:
; codeLenInByte = 4
; TotalNumSgprs: 0
; NumVgprs: 0
; ScratchSize: 0
; MemoryBound: 0
; FloatMode: 240
; IeeeMode: 1
; LDSByteSize: 0 bytes/workgroup (compile time only)
; SGPRBlocks: 0
; VGPRBlocks: 0
; NumSGPRsForWavesPerEU: 1
; NumVGPRsForWavesPerEU: 1
; Occupancy: 16
; WaveLimiterHint : 0
; COMPUTE_PGM_RSRC2:SCRATCH_EN: 0
; COMPUTE_PGM_RSRC2:USER_SGPR: 0
; COMPUTE_PGM_RSRC2:TRAP_HANDLER: 0
; COMPUTE_PGM_RSRC2:TGID_X_EN: 1
; COMPUTE_PGM_RSRC2:TGID_Y_EN: 0
; COMPUTE_PGM_RSRC2:TGID_Z_EN: 0
; COMPUTE_PGM_RSRC2:TIDIG_COMP_CNT: 0
	.section	.text._ZN2ck15kernel_gemm_dppINS_35GridwiseGemm_ak0mak1_bk0nbk1_mn_dppILi128EDF16_fDF16_LNS_25InMemoryDataOperationEnumE0ENS_13tensor_layout4gemm8RowMajorENS4_11ColumnMajorES5_NS_16tensor_operation12element_wise11PassThroughES9_S9_LNS7_6device18GemmSpecializationE4ELi64ELi64ELi64ELi32ELi8ELi8ELi2ELi2ELi2ENS_8SequenceIJLi4ELi32ELi1EEEENSC_IJLi1ELi0ELi2EEEESE_Li2ELi8ELi8ELb0ELb1ESD_SE_SE_Li2ELi2ELi2ELb0ELb1ENSC_IJLi0ELi2ELi4ELi1ELi3ELi5EEEELi5ELi1ELi1ELNS_15PipelineVersionE0EEELb1EEEvNT_8ArgumentE,"axG",@progbits,_ZN2ck15kernel_gemm_dppINS_35GridwiseGemm_ak0mak1_bk0nbk1_mn_dppILi128EDF16_fDF16_LNS_25InMemoryDataOperationEnumE0ENS_13tensor_layout4gemm8RowMajorENS4_11ColumnMajorES5_NS_16tensor_operation12element_wise11PassThroughES9_S9_LNS7_6device18GemmSpecializationE4ELi64ELi64ELi64ELi32ELi8ELi8ELi2ELi2ELi2ENS_8SequenceIJLi4ELi32ELi1EEEENSC_IJLi1ELi0ELi2EEEESE_Li2ELi8ELi8ELb0ELb1ESD_SE_SE_Li2ELi2ELi2ELb0ELb1ENSC_IJLi0ELi2ELi4ELi1ELi3ELi5EEEELi5ELi1ELi1ELNS_15PipelineVersionE0EEELb1EEEvNT_8ArgumentE,comdat
	.protected	_ZN2ck15kernel_gemm_dppINS_35GridwiseGemm_ak0mak1_bk0nbk1_mn_dppILi128EDF16_fDF16_LNS_25InMemoryDataOperationEnumE0ENS_13tensor_layout4gemm8RowMajorENS4_11ColumnMajorES5_NS_16tensor_operation12element_wise11PassThroughES9_S9_LNS7_6device18GemmSpecializationE4ELi64ELi64ELi64ELi32ELi8ELi8ELi2ELi2ELi2ENS_8SequenceIJLi4ELi32ELi1EEEENSC_IJLi1ELi0ELi2EEEESE_Li2ELi8ELi8ELb0ELb1ESD_SE_SE_Li2ELi2ELi2ELb0ELb1ENSC_IJLi0ELi2ELi4ELi1ELi3ELi5EEEELi5ELi1ELi1ELNS_15PipelineVersionE0EEELb1EEEvNT_8ArgumentE ; -- Begin function _ZN2ck15kernel_gemm_dppINS_35GridwiseGemm_ak0mak1_bk0nbk1_mn_dppILi128EDF16_fDF16_LNS_25InMemoryDataOperationEnumE0ENS_13tensor_layout4gemm8RowMajorENS4_11ColumnMajorES5_NS_16tensor_operation12element_wise11PassThroughES9_S9_LNS7_6device18GemmSpecializationE4ELi64ELi64ELi64ELi32ELi8ELi8ELi2ELi2ELi2ENS_8SequenceIJLi4ELi32ELi1EEEENSC_IJLi1ELi0ELi2EEEESE_Li2ELi8ELi8ELb0ELb1ESD_SE_SE_Li2ELi2ELi2ELb0ELb1ENSC_IJLi0ELi2ELi4ELi1ELi3ELi5EEEELi5ELi1ELi1ELNS_15PipelineVersionE0EEELb1EEEvNT_8ArgumentE
	.globl	_ZN2ck15kernel_gemm_dppINS_35GridwiseGemm_ak0mak1_bk0nbk1_mn_dppILi128EDF16_fDF16_LNS_25InMemoryDataOperationEnumE0ENS_13tensor_layout4gemm8RowMajorENS4_11ColumnMajorES5_NS_16tensor_operation12element_wise11PassThroughES9_S9_LNS7_6device18GemmSpecializationE4ELi64ELi64ELi64ELi32ELi8ELi8ELi2ELi2ELi2ENS_8SequenceIJLi4ELi32ELi1EEEENSC_IJLi1ELi0ELi2EEEESE_Li2ELi8ELi8ELb0ELb1ESD_SE_SE_Li2ELi2ELi2ELb0ELb1ENSC_IJLi0ELi2ELi4ELi1ELi3ELi5EEEELi5ELi1ELi1ELNS_15PipelineVersionE0EEELb1EEEvNT_8ArgumentE
	.p2align	8
	.type	_ZN2ck15kernel_gemm_dppINS_35GridwiseGemm_ak0mak1_bk0nbk1_mn_dppILi128EDF16_fDF16_LNS_25InMemoryDataOperationEnumE0ENS_13tensor_layout4gemm8RowMajorENS4_11ColumnMajorES5_NS_16tensor_operation12element_wise11PassThroughES9_S9_LNS7_6device18GemmSpecializationE4ELi64ELi64ELi64ELi32ELi8ELi8ELi2ELi2ELi2ENS_8SequenceIJLi4ELi32ELi1EEEENSC_IJLi1ELi0ELi2EEEESE_Li2ELi8ELi8ELb0ELb1ESD_SE_SE_Li2ELi2ELi2ELb0ELb1ENSC_IJLi0ELi2ELi4ELi1ELi3ELi5EEEELi5ELi1ELi1ELNS_15PipelineVersionE0EEELb1EEEvNT_8ArgumentE,@function
_ZN2ck15kernel_gemm_dppINS_35GridwiseGemm_ak0mak1_bk0nbk1_mn_dppILi128EDF16_fDF16_LNS_25InMemoryDataOperationEnumE0ENS_13tensor_layout4gemm8RowMajorENS4_11ColumnMajorES5_NS_16tensor_operation12element_wise11PassThroughES9_S9_LNS7_6device18GemmSpecializationE4ELi64ELi64ELi64ELi32ELi8ELi8ELi2ELi2ELi2ENS_8SequenceIJLi4ELi32ELi1EEEENSC_IJLi1ELi0ELi2EEEESE_Li2ELi8ELi8ELb0ELb1ESD_SE_SE_Li2ELi2ELi2ELb0ELb1ENSC_IJLi0ELi2ELi4ELi1ELi3ELi5EEEELi5ELi1ELi1ELNS_15PipelineVersionE0EEELb1EEEvNT_8ArgumentE: ; @_ZN2ck15kernel_gemm_dppINS_35GridwiseGemm_ak0mak1_bk0nbk1_mn_dppILi128EDF16_fDF16_LNS_25InMemoryDataOperationEnumE0ENS_13tensor_layout4gemm8RowMajorENS4_11ColumnMajorES5_NS_16tensor_operation12element_wise11PassThroughES9_S9_LNS7_6device18GemmSpecializationE4ELi64ELi64ELi64ELi32ELi8ELi8ELi2ELi2ELi2ENS_8SequenceIJLi4ELi32ELi1EEEENSC_IJLi1ELi0ELi2EEEESE_Li2ELi8ELi8ELb0ELb1ESD_SE_SE_Li2ELi2ELi2ELb0ELb1ENSC_IJLi0ELi2ELi4ELi1ELi3ELi5EEEELi5ELi1ELi1ELNS_15PipelineVersionE0EEELb1EEEvNT_8ArgumentE
; %bb.0:
	s_getpc_b64 s[2:3]
	s_sext_i32_i16 s3, s3
	s_add_co_u32 s2, s2, _ZN2ck35GridwiseGemm_ak0mak1_bk0nbk1_mn_dppILi128EDF16_fDF16_LNS_25InMemoryDataOperationEnumE0ENS_13tensor_layout4gemm8RowMajorENS3_11ColumnMajorES4_NS_16tensor_operation12element_wise11PassThroughES8_S8_LNS6_6device18GemmSpecializationE4ELi64ELi64ELi64ELi32ELi8ELi8ELi2ELi2ELi2ENS_8SequenceIJLi4ELi32ELi1EEEENSB_IJLi1ELi0ELi2EEEESD_Li2ELi8ELi8ELb0ELb1ESC_SD_SD_Li2ELi2ELi2ELb0ELb1ENSB_IJLi0ELi2ELi4ELi1ELi3ELi5EEEELi5ELi1ELi1ELNS_15PipelineVersionE0EE13matrix_padderE@rel32@lo+8
	s_add_co_ci_u32 s3, s3, _ZN2ck35GridwiseGemm_ak0mak1_bk0nbk1_mn_dppILi128EDF16_fDF16_LNS_25InMemoryDataOperationEnumE0ENS_13tensor_layout4gemm8RowMajorENS3_11ColumnMajorES4_NS_16tensor_operation12element_wise11PassThroughES8_S8_LNS6_6device18GemmSpecializationE4ELi64ELi64ELi64ELi32ELi8ELi8ELi2ELi2ELi2ENS_8SequenceIJLi4ELi32ELi1EEEENSB_IJLi1ELi0ELi2EEEESD_Li2ELi8ELi8ELb0ELb1ESC_SD_SD_Li2ELi2ELi2ELb0ELb1ENSB_IJLi0ELi2ELi4ELi1ELi3ELi5EEEELi5ELi1ELi1ELNS_15PipelineVersionE0EE13matrix_padderE@rel32@hi+16
	s_load_b128 s[4:7], s[0:1], 0x10
	s_load_b64 s[10:11], s[2:3], 0x0
	s_mov_b32 s17, 0
	s_clause 0x1
	s_load_b128 s[24:27], s[0:1], 0x38
	s_load_b32 s38, s[0:1], 0x30
	s_mov_b32 s28, s17
	v_dual_mov_b32 v124, 0 :: v_dual_lshlrev_b32 v3, 1, v0
	v_dual_mov_b32 v120, 0 :: v_dual_and_b32 v41, 3, v0
	v_mov_b32_e32 v122, 0
	s_delay_alu instid0(VALU_DEP_3)
	v_and_b32_e32 v24, 6, v3
	v_mov_b32_e32 v244, 0
	v_mov_b32_e32 v242, 0
	v_mov_b32_e32 v240, 0
	v_mov_b32_e32 v238, 0
	v_and_b32_e32 v40, 7, v0
	s_wait_kmcnt 0x0
	s_abs_i32 s8, s10
	s_delay_alu instid0(SALU_CYCLE_1) | instskip(SKIP_1) | instid1(SALU_CYCLE_2)
	s_cvt_f32_u32 s2, s8
	s_sub_co_i32 s12, 0, s8
	v_rcp_iflag_f32_e32 v1, s2
	s_delay_alu instid0(TRANS32_DEP_1)
	v_readfirstlane_b32 s2, v1
	s_mul_f32 s9, s2, 0x4f7ffffe
	s_load_b64 s[2:3], s[0:1], 0x20
	s_add_co_i32 s10, s4, s10
	s_mov_b32 s16, s7
	s_cvt_u32_f32 s9, s9
	s_add_co_i32 s10, s10, -1
	s_add_co_i32 s29, s4, -1
	s_abs_i32 s18, s10
	s_mul_i32 s12, s12, s9
	s_mul_u64 s[14:15], s[28:29], s[16:17]
	s_mul_hi_u32 s12, s9, s12
	s_ashr_i32 s13, s15, 31
	s_add_co_i32 s12, s9, s12
	s_ashr_i32 s9, s6, 31
	s_mul_hi_u32 s12, s18, s12
	s_ashr_i32 s14, s10, 31
	s_mul_i32 s12, s12, s8
	s_delay_alu instid0(SALU_CYCLE_1) | instskip(SKIP_4) | instid1(SALU_CYCLE_1)
	s_sub_co_i32 s12, s18, s12
	s_mov_b32 s18, s17
	s_sub_co_i32 s16, s12, s8
	s_cmp_ge_u32 s12, s8
	s_cselect_b32 s12, s16, s12
	s_sub_co_i32 s16, s12, s8
	s_cmp_ge_u32 s12, s8
	s_cselect_b32 s8, s16, s12
	s_abs_i32 s12, s11
	s_add_co_i32 s19, s5, -1
	s_cvt_f32_u32 s16, s12
	s_sub_co_i32 s21, 0, s12
	s_add_co_i32 s11, s5, s11
	s_xor_b32 s8, s8, s14
	v_rcp_iflag_f32_e32 v1, s16
	s_add_co_i32 s11, s11, -1
	s_sub_co_i32 s8, s14, s8
	s_delay_alu instid0(SALU_CYCLE_1) | instskip(NEXT) | instid1(TRANS32_DEP_1)
	s_add_co_i32 s8, s10, s8
	v_readfirstlane_b32 s16, v1
	s_mul_f32 s20, s16, 0x4f7ffffe
	s_wait_kmcnt 0x0
	s_mov_b32 s16, s2
	s_wait_alu 0xfffe
	s_mul_u64 s[16:17], s[18:19], s[16:17]
	s_cvt_u32_f32 s20, s20
	s_abs_i32 s18, s11
	s_wait_alu 0xfffe
	s_ashr_i32 s37, s17, 31
	s_mov_b32 s36, s17
	s_mul_i32 s21, s21, s20
	s_delay_alu instid0(SALU_CYCLE_1) | instskip(SKIP_4) | instid1(SALU_CYCLE_1)
	s_mul_hi_u32 s16, s20, s21
	s_wait_alu 0xfffe
	s_add_co_i32 s20, s20, s16
	s_ashr_i32 s16, s11, 31
	s_mul_hi_u32 s14, s18, s20
	s_mul_i32 s14, s14, s12
	s_delay_alu instid0(SALU_CYCLE_1) | instskip(NEXT) | instid1(SALU_CYCLE_1)
	s_sub_co_i32 s14, s18, s14
	s_sub_co_i32 s10, s14, s12
	s_cmp_ge_u32 s14, s12
	s_cselect_b32 s10, s10, s14
	s_delay_alu instid0(SALU_CYCLE_1)
	s_sub_co_i32 s14, s10, s12
	s_cmp_ge_u32 s10, s12
	s_cselect_b32 s10, s14, s10
	s_add_co_i32 s8, s8, 63
	s_wait_alu 0xfffe
	s_xor_b32 s10, s10, s16
	s_delay_alu instid0(SALU_CYCLE_1)
	s_sub_co_i32 s10, s16, s10
	s_abs_i32 s16, ttmp9
	s_add_co_i32 s10, s11, s10
	s_ashr_i32 s11, s8, 31
	s_add_co_i32 s10, s10, 63
	s_lshr_b32 s11, s11, 26
	s_ashr_i32 s12, s10, 31
	s_add_co_i32 s8, s8, s11
	s_lshr_b32 s12, s12, 26
	s_ashr_i32 s11, s8, 6
	s_add_co_i32 s10, s10, s12
	s_delay_alu instid0(SALU_CYCLE_1) | instskip(NEXT) | instid1(SALU_CYCLE_1)
	s_ashr_i32 s8, s10, 6
	s_mul_i32 s10, s8, s11
	s_delay_alu instid0(SALU_CYCLE_1) | instskip(NEXT) | instid1(SALU_CYCLE_1)
	s_abs_i32 s10, s10
	s_cvt_f32_u32 s12, s10
	s_sub_co_i32 s14, 0, s10
	s_delay_alu instid0(SALU_CYCLE_2) | instskip(NEXT) | instid1(TRANS32_DEP_1)
	v_rcp_iflag_f32_e32 v1, s12
	v_readfirstlane_b32 s12, v1
	s_mul_f32 s12, s12, 0x4f7ffffe
	s_wait_alu 0xfffe
	s_delay_alu instid0(SALU_CYCLE_2) | instskip(SKIP_1) | instid1(SALU_CYCLE_2)
	s_cvt_u32_f32 s12, s12
	s_wait_alu 0xfffe
	s_mul_i32 s14, s14, s12
	s_delay_alu instid0(SALU_CYCLE_1) | instskip(NEXT) | instid1(SALU_CYCLE_1)
	s_mul_hi_u32 s14, s12, s14
	s_add_co_i32 s12, s12, s14
	s_getpc_b64 s[30:31]
	s_sext_i32_i16 s31, s31
	s_add_co_u32 s30, s30, _ZN2ck45BlockwiseGemmDpp_ak0mak1_bk0nbk1_m0n0m1n1m2n2ILi128EDF16_fKNS_16TensorDescriptorINS_5TupleIJNS_5EmbedINS2_IJNS_17integral_constantIiLi8EEENS4_IiLi64EEES5_EEENS2_IJNS4_IiLi520EEES5_NS4_IiLi1EEEEEELb0EEEEEENS2_IJNS_8SequenceIJLi0EEEEEEENS2_IJNSD_IJLi1ELi2ELi3EEEEEEESG_NS4_IlLl4152EEEEEKNS1_INS2_IJNS3_INS2_IJNS4_IiLi32EEES6_NS4_IiLi2EEEEEENS2_IJNS4_IiLi130EEESM_S9_EEELb0EEEEEESF_SH_SG_NS4_IlLl4158EEEEELi32ELi8ELi2ELi2ELi8EE6MWavesE@rel32@lo+8
	s_add_co_ci_u32 s31, s31, _ZN2ck45BlockwiseGemmDpp_ak0mak1_bk0nbk1_m0n0m1n1m2n2ILi128EDF16_fKNS_16TensorDescriptorINS_5TupleIJNS_5EmbedINS2_IJNS_17integral_constantIiLi8EEENS4_IiLi64EEES5_EEENS2_IJNS4_IiLi520EEES5_NS4_IiLi1EEEEEELb0EEEEEENS2_IJNS_8SequenceIJLi0EEEEEEENS2_IJNSD_IJLi1ELi2ELi3EEEEEEESG_NS4_IlLl4152EEEEEKNS1_INS2_IJNS3_INS2_IJNS4_IiLi32EEES6_NS4_IiLi2EEEEEENS2_IJNS4_IiLi130EEESM_S9_EEELb0EEEEEESF_SH_SG_NS4_IlLl4158EEEEELi32ELi8ELi2ELi2ELi8EE6MWavesE@rel32@hi+16
	s_wait_alu 0xfffe
	s_mul_hi_u32 s12, s16, s12
	s_getpc_b64 s[34:35]
	s_sext_i32_i16 s35, s35
	s_add_co_u32 s34, s34, _ZN2ck45BlockwiseGemmDpp_ak0mak1_bk0nbk1_m0n0m1n1m2n2ILi128EDF16_fKNS_16TensorDescriptorINS_5TupleIJNS_5EmbedINS2_IJNS_17integral_constantIiLi8EEENS4_IiLi64EEES5_EEENS2_IJNS4_IiLi520EEES5_NS4_IiLi1EEEEEELb0EEEEEENS2_IJNS_8SequenceIJLi0EEEEEEENS2_IJNSD_IJLi1ELi2ELi3EEEEEEESG_NS4_IlLl4152EEEEEKNS1_INS2_IJNS3_INS2_IJNS4_IiLi32EEES6_NS4_IiLi2EEEEEENS2_IJNS4_IiLi130EEESM_S9_EEELb0EEEEEESF_SH_SG_NS4_IlLl4158EEEEELi32ELi8ELi2ELi2ELi8EE6NWavesE@rel32@lo+8
	s_add_co_ci_u32 s35, s35, _ZN2ck45BlockwiseGemmDpp_ak0mak1_bk0nbk1_m0n0m1n1m2n2ILi128EDF16_fKNS_16TensorDescriptorINS_5TupleIJNS_5EmbedINS2_IJNS_17integral_constantIiLi8EEENS4_IiLi64EEES5_EEENS2_IJNS4_IiLi520EEES5_NS4_IiLi1EEEEEELb0EEEEEENS2_IJNS_8SequenceIJLi0EEEEEEENS2_IJNSD_IJLi1ELi2ELi3EEEEEEESG_NS4_IlLl4152EEEEEKNS1_INS2_IJNS3_INS2_IJNS4_IiLi32EEES6_NS4_IiLi2EEEEEENS2_IJNS4_IiLi130EEESM_S9_EEELb0EEEEEESF_SH_SG_NS4_IlLl4158EEEEELi32ELi8ELi2ELi2ELi8EE6NWavesE@rel32@hi+16
	s_wait_alu 0xfffe
	s_mul_i32 s12, s12, s10
	s_ashr_i32 s14, ttmp9, 31
	s_wait_alu 0xfffe
	s_sub_co_i32 s12, s16, s12
	s_wait_alu 0xfffe
	s_sub_co_i32 s16, s12, s10
	s_cmp_ge_u32 s12, s10
	s_wait_alu 0xfffe
	s_cselect_b32 s12, s16, s12
	s_wait_alu 0xfffe
	s_sub_co_i32 s16, s12, s10
	s_cmp_ge_u32 s12, s10
	s_wait_alu 0xfffe
	s_cselect_b32 s10, s16, s12
	s_abs_i32 s16, s8
	s_xor_b32 s10, s10, s14
	s_wait_alu 0xfffe
	s_cvt_f32_u32 s12, s16
	s_wait_alu 0xfffe
	s_delay_alu instid0(SALU_CYCLE_2) | instskip(NEXT) | instid1(TRANS32_DEP_1)
	v_rcp_iflag_f32_e32 v1, s12
	v_readfirstlane_b32 s12, v1
	v_lshrrev_b32_e32 v1, 1, v0
	s_mul_f32 s12, s12, 0x4f7ffffe
	s_delay_alu instid0(VALU_DEP_1) | instskip(SKIP_1) | instid1(SALU_CYCLE_1)
	v_and_b32_e32 v23, 0x7e, v1
	s_wait_alu 0xfffe
	s_cvt_u32_f32 s18, s12
	s_sub_co_i32 s12, 0, s16
	s_wait_alu 0xfffe
	s_delay_alu instid0(SALU_CYCLE_1)
	s_mul_i32 s19, s12, s18
	s_sub_co_i32 s12, s10, s14
	s_mul_hi_u32 s10, s18, s19
	s_wait_alu 0xfffe
	s_abs_i32 s14, s12
	s_add_co_i32 s18, s18, s10
	s_delay_alu instid0(SALU_CYCLE_1)
	s_mul_hi_u32 s10, s14, s18
	s_xor_b32 s18, s12, s8
	s_mul_i32 s19, s10, s16
	s_ashr_i32 s18, s18, 31
	s_sub_co_i32 s14, s14, s19
	s_add_co_i32 s19, s10, 1
	s_sub_co_i32 s20, s14, s16
	s_cmp_ge_u32 s14, s16
	s_cselect_b32 s10, s19, s10
	s_cselect_b32 s14, s20, s14
	s_add_co_i32 s19, s10, 1
	s_cmp_ge_u32 s14, s16
	s_cselect_b32 s10, s19, s10
	s_lshr_b32 s14, s11, 29
	s_xor_b32 s10, s10, s18
	s_add_co_i32 s14, s11, s14
	s_sub_co_i32 s16, s10, s18
	s_and_b32 s14, s14, -8
	s_wait_alu 0xfffe
	s_mul_i32 s21, s16, s8
	s_sub_co_i32 s10, s11, s14
	s_cmp_ge_i32 s16, s14
	s_cselect_b32 s10, s10, 8
	s_ashr_i32 s20, s16, 31
	s_abs_i32 s14, s10
	s_lshr_b32 s20, s20, 29
	s_cvt_f32_u32 s11, s14
	s_add_co_i32 s20, s16, s20
	s_sub_co_i32 s12, s12, s21
	s_and_b32 s21, s20, -8
	v_rcp_iflag_f32_e32 v2, s11
	s_sub_co_i32 s16, s16, s21
	s_sub_co_i32 s20, 0, s14
	s_wait_alu 0xfffe
	s_mul_i32 s8, s16, s8
	s_mov_b32 s11, 0x31004000
	s_add_co_i32 s12, s8, s12
	s_wait_alu 0xfffe
	s_mov_b32 s23, s11
	s_abs_i32 s16, s12
	s_mov_b32 s19, s11
	v_readfirstlane_b32 s18, v2
	v_lshlrev_b32_e32 v2, 3, v0
	s_mul_f32 s18, s18, 0x4f7ffffe
	s_delay_alu instid0(VALU_DEP_1) | instskip(NEXT) | instid1(SALU_CYCLE_2)
	v_and_b32_e32 v25, 24, v2
	s_cvt_u32_f32 s18, s18
	s_delay_alu instid0(VALU_DEP_1) | instskip(NEXT) | instid1(SALU_CYCLE_2)
	v_mul_u32_u24_e32 v42, 0x104, v25
	s_mul_i32 s20, s20, s18
	s_delay_alu instid0(SALU_CYCLE_1) | instskip(NEXT) | instid1(SALU_CYCLE_1)
	s_mul_hi_u32 s8, s18, s20
	s_add_co_i32 s18, s18, s8
	s_wait_alu 0xfffe
	s_mul_hi_u32 s8, s16, s18
	s_xor_b32 s18, s12, s10
	s_mul_i32 s20, s8, s14
	s_ashr_i32 s18, s18, 31
	s_sub_co_i32 s16, s16, s20
	s_add_co_i32 s20, s8, 1
	s_wait_alu 0xfffe
	s_sub_co_i32 s22, s16, s14
	s_cmp_ge_u32 s16, s14
	s_cselect_b32 s8, s20, s8
	s_cselect_b32 s16, s22, s16
	s_add_co_i32 s20, s8, 1
	s_wait_alu 0xfffe
	s_cmp_ge_u32 s16, s14
	s_mov_b32 s16, s24
	s_cselect_b32 s8, s20, s8
	s_mov_b32 s20, s26
	s_xor_b32 s14, s8, s18
	s_mov_b32 s8, s6
	s_sub_co_i32 s14, s14, s18
	s_and_b32 s17, s25, 0xffff
	s_lshl_b32 s6, s14, 6
	s_mul_i32 s14, s14, s10
	v_add_nc_u32_e32 v26, s6, v23
	s_sub_co_i32 s10, s12, s14
	s_mov_b32 s12, s15
	s_wait_alu 0xfffe
	s_add_co_i32 s21, s21, s10
	s_add_nc_u64 s[12:13], s[12:13], s[8:9]
	s_lshl_b32 s33, s21, 6
	v_mul_lo_u32 v27, v26, s2
	v_add_nc_u32_e32 v28, s33, v23
	s_add_nc_u64 s[8:9], s[36:37], s[8:9]
	s_and_b32 s21, s27, 0xffff
	s_lshl_b32 s14, s8, 1
	s_wait_alu 0xfffe
	s_lshl_b32 s10, s12, 1
	v_mul_lo_u32 v29, v28, s7
	s_mov_b32 s22, s14
	v_lshl_add_u32 v1, v25, 1, v27
	s_wait_alu 0xfffe
	s_mov_b32 s18, s10
	v_add_lshl_u32 v49, v27, s2, 1
	s_mov_b32 s9, s17
	v_dual_mov_b32 v241, 0 :: v_dual_lshlrev_b32 v50, 1, v27
	v_add_nc_u32_e32 v5, 14, v1
	v_lshl_add_u32 v12, v24, 3, v29
	v_lshlrev_b32_e32 v4, 1, v1
	v_add_lshl_u32 v6, v1, s2, 1
	s_clause 0x1
	buffer_load_b128 v[45:48], v4, s[20:23], null offen
	buffer_load_b96 v[20:22], v4, s[20:23], null offen offset:16
	v_add_lshl_u32 v8, v5, s2, 1
	v_add_nc_u32_e32 v10, 8, v12
	v_lshlrev_b32_e32 v4, 1, v12
	v_lshlrev_b32_e32 v9, 1, v5
	buffer_load_b32 v30, v6, s[20:23], null offen
	v_add_nc_u32_e32 v11, -4, v8
	v_add_nc_u32_e32 v13, -8, v8
	v_lshlrev_b32_e32 v18, 1, v10
	v_add_nc_u32_e32 v14, -12, v8
	v_add_nc_u32_e32 v15, -16, v8
	v_subrev_nc_u32_e32 v16, 20, v8
	v_subrev_nc_u32_e32 v17, 24, v8
	buffer_load_b128 v[4:7], v4, s[16:19], null offen
	s_clause 0x7
	buffer_load_b32 v31, v8, s[20:23], null offen
	buffer_load_b32 v32, v11, s[20:23], null offen
	;; [unrolled: 1-line block ×8, first 2 shown]
	v_add_lshl_u32 v13, v10, s7, 1
	v_add_lshl_u32 v16, v12, s7, 1
	s_clause 0x2
	buffer_load_b128 v[8:11], v18, s[16:19], null offen
	buffer_load_b128 v[12:15], v13, s[16:19], null offen
	;; [unrolled: 1-line block ×3, first 2 shown]
	v_mov_b32_e32 v1, 0
	s_load_b64 s[18:19], s[0:1], 0x48
	s_load_b32 s16, s[30:31], 0x0
	s_load_b32 s20, s[34:35], 0x0
	s_ashr_i32 s0, s38, 31
	scratch_store_b32 off, v1, off offset:124 ; 4-byte Folded Spill
	v_mov_b32_e32 v1, 0
	s_lshr_b32 s0, s0, 29
	v_lshl_add_u32 v51, v29, 1, 0x90
	s_add_co_i32 s38, s38, s0
	s_mov_b32 s15, s11
	scratch_store_b32 off, v1, off offset:140 ; 4-byte Folded Spill
	v_mov_b32_e32 v1, 0
	v_cmp_gt_i32_e32 vcc_lo, s5, v26
	v_and_b32_e32 v39, 31, v0
	s_ashr_i32 s0, s38, 3
	v_mov_b32_e32 v239, 0
	scratch_store_b32 off, v1, off offset:132 ; 4-byte Folded Spill
	v_mov_b32_e32 v1, 0
	v_cmp_gt_i32_e64 s1, s4, v28
	s_max_i32 s0, s0, 2
	v_mov_b32_e32 v237, 0
	s_add_co_i32 s17, s0, -1
	scratch_store_b32 off, v1, off offset:128 ; 4-byte Folded Spill
	v_mov_b32_e32 v1, 0
	s_mov_b32 s8, s24
	s_mov_b32 s12, s26
	;; [unrolled: 1-line block ×3, first 2 shown]
	s_clause 0x1
	scratch_store_b32 off, v0, off offset:672
	scratch_store_b32 off, v1, off offset:136
	v_mov_b32_e32 v1, 0
	scratch_store_b32 off, v1, off offset:104 ; 4-byte Folded Spill
	v_mov_b32_e32 v1, 0
	scratch_store_b32 off, v1, off offset:96 ; 4-byte Folded Spill
	;; [unrolled: 2-line block ×16, first 2 shown]
	v_lshrrev_b32_e32 v1, 2, v0
	v_lshlrev_b32_e32 v0, 5, v41
	v_lshlrev_b32_e32 v41, 4, v23
	;; [unrolled: 1-line block ×3, first 2 shown]
	s_delay_alu instid0(VALU_DEP_4)
	v_and_or_b32 v39, v1, 32, v39
	scratch_store_b32 off, v0, off offset:612 ; 4-byte Folded Spill
	v_lshlrev_b32_e32 v0, 4, v39
	scratch_store_b32 off, v1, off offset:684 ; 4-byte Folded Spill
	v_and_or_b32 v1, v1, 24, v40
	v_mul_u32_u24_e32 v40, 0x410, v24
	v_mov_b32_e32 v243, 0
	scratch_store_b32 off, v0, off offset:56 ; 4-byte Folded Spill
	v_mad_u32_u24 v39, 0x410, v24, v41
	v_mov_b32_e32 v0, v1
	v_mad_u32_u24 v24, 0x104, v25, v23
	v_add_nc_u32_e32 v23, v42, v23
	v_add_nc_u32_e32 v25, s7, v29
	scratch_store_b64 off, v[0:1], off offset:676 ; 8-byte Folded Spill
	v_lshlrev_b32_e32 v0, 2, v1
	v_add_nc_u32_e32 v1, v40, v41
	v_add_nc_u32_e32 v40, 0x2174, v24
	;; [unrolled: 1-line block ×5, first 2 shown]
	scratch_store_b32 off, v1, off offset:616 ; 4-byte Folded Spill
	v_add_nc_u32_e32 v1, 0x2000, v0
	v_add_nc_u32_e32 v44, 0x2000, v24
	v_or_b32_e32 v24, 1, v28
	v_lshl_add_u32 v52, v25, 1, 0x90
	scratch_store_b32 off, v1, off offset:620 ; 4-byte Folded Spill
	v_add_nc_u32_e32 v1, 0x2400, v0
	v_cmp_gt_i32_e64 s2, s4, v24
	scratch_store_b32 off, v1, off offset:624 ; 4-byte Folded Spill
	v_add_nc_u32_e32 v1, 0x2800, v0
	scratch_store_b32 off, v1, off offset:628 ; 4-byte Folded Spill
	v_add_nc_u32_e32 v1, 0x2c00, v0
	;; [unrolled: 2-line block ×5, first 2 shown]
	s_clause 0x1
	scratch_store_b32 off, v1, off offset:644
	scratch_store_b32 off, v0, off offset:608
	v_add_nc_u32_e32 v0, 0x3c00, v0
	scratch_store_b32 off, v0, off offset:648 ; 4-byte Folded Spill
	v_add_nc_u32_e32 v0, 0x2174, v23
	scratch_store_b32 off, v0, off offset:652 ; 4-byte Folded Spill
	;; [unrolled: 2-line block ×5, first 2 shown]
	v_add_nc_u32_e32 v0, 0x2000, v23
	v_or_b32_e32 v23, 1, v26
	scratch_store_b32 off, v0, off offset:668 ; 4-byte Folded Spill
	v_cmp_gt_i32_e64 s0, s5, v23
	s_wait_loadcnt 0xd
	v_dual_cndmask_b32 v29, 0, v46 :: v_dual_cndmask_b32 v20, 0, v20
	v_dual_cndmask_b32 v46, 0, v21 :: v_dual_cndmask_b32 v27, 0, v22
	v_cndmask_b32_e32 v23, 0, v45, vcc_lo
	v_cndmask_b32_e32 v25, 0, v47, vcc_lo
	s_wait_loadcnt 0xb
	v_cndmask_b32_e64 v3, 0, v7, s1
	v_cndmask_b32_e64 v2, 0, v6, s1
	;; [unrolled: 1-line block ×4, first 2 shown]
	s_wait_loadcnt 0x9
	v_cndmask_b32_e64 v28, 0, v32, s0
	s_wait_loadcnt 0x7
	v_cndmask_b32_e64 v21, 0, v34, s0
	v_cndmask_b32_e32 v45, 0, v48, vcc_lo
	v_cndmask_b32_e64 v22, 0, v31, s0
	v_cndmask_b32_e64 v24, 0, v30, s0
	s_wait_loadcnt 0x3
	v_cndmask_b32_e32 v30, 0, v38, vcc_lo
	v_cndmask_b32_e64 v31, 0, v33, s0
	s_wait_loadcnt 0x2
	v_cndmask_b32_e64 v7, 0, v11, s1
	v_cndmask_b32_e64 v6, 0, v10, s1
	;; [unrolled: 1-line block ×4, first 2 shown]
	s_wait_loadcnt 0x1
	s_wait_alu 0xf1ff
	v_cndmask_b32_e64 v11, 0, v15, s2
	v_cndmask_b32_e64 v10, 0, v14, s2
	;; [unrolled: 1-line block ×4, first 2 shown]
	s_wait_loadcnt 0x0
	v_cndmask_b32_e64 v15, 0, v19, s2
	v_cndmask_b32_e64 v14, 0, v18, s2
	;; [unrolled: 1-line block ×7, first 2 shown]
	ds_store_b128 v39, v[4:7] offset:1040
	ds_store_b128 v39, v[8:11] offset:1056
	ds_store_b128 v39, v[0:3]
	ds_store_b128 v39, v[12:15] offset:16
	ds_store_2addr_b64 v44, v[20:21], v[27:28] offset0:144 offset1:209
	ds_store_2addr_b32 v43, v30, v22 offset1:1
	ds_store_2addr_b32 v42, v46, v31 offset1:1
	;; [unrolled: 1-line block ×4, first 2 shown]
	ds_store_2addr_b64 v44, v[23:24], v[25:26] offset0:14 offset1:79
.LBB1_1:                                ; =>This Inner Loop Header: Depth=1
	s_clause 0xb
	scratch_store_b32 off, v244, off offset:376
	scratch_store_b32 off, v243, off offset:372
	;; [unrolled: 1-line block ×12, first 2 shown]
	scratch_load_b32 v2, off, off offset:612 ; 4-byte Folded Reload
	s_wait_alu 0xfffe
	s_add_co_i32 s17, s17, -1
	s_wait_alu 0xfffe
	s_cmp_lg_u32 s17, 0
	s_wait_loadcnt 0x0
	v_add_nc_u32_e32 v0, v2, v51
	s_delay_alu instid0(VALU_DEP_1)
	v_add_nc_u32_e32 v1, -16, v0
	buffer_load_b128 v[3:6], v1, s[8:11], null offen
	s_wait_loadcnt 0x0
	scratch_store_b128 off, v[3:6], off offset:272 ; 16-byte Folded Spill
	buffer_load_b128 v[3:6], v0, s[8:11], null offen
	v_add_nc_u32_e32 v0, v2, v52
	s_wait_loadcnt 0x0
	scratch_store_b128 off, v[3:6], off offset:256 ; 16-byte Folded Spill
	buffer_load_b128 v[3:6], v0, s[8:11], null offen
	v_add_nc_u32_e32 v0, -16, v0
	s_wait_loadcnt 0x0
	scratch_store_b128 off, v[3:6], off offset:240 ; 16-byte Folded Spill
	buffer_load_b128 v[3:6], v0, s[8:11], null offen
	v_add_nc_u32_e32 v0, v2, v50
	s_wait_loadcnt 0x0
	scratch_store_b128 off, v[3:6], off offset:224 ; 16-byte Folded Spill
	s_wait_dscnt 0x0
	s_barrier_signal -1
	s_barrier_wait -1
	buffer_load_b128 v[3:6], v0, s[12:15], null offen offset:128
	s_wait_loadcnt 0x0
	scratch_store_b128 off, v[3:6], off offset:208 ; 16-byte Folded Spill
	buffer_load_b128 v[3:6], v0, s[12:15], null offen offset:144
	v_add_nc_u32_e32 v0, v2, v49
	s_wait_loadcnt 0x0
	scratch_store_b128 off, v[3:6], off offset:192 ; 16-byte Folded Spill
	buffer_load_b128 v[1:4], v0, s[12:15], null offen offset:128
	s_wait_loadcnt 0x0
	scratch_store_b128 off, v[1:4], off offset:160 ; 16-byte Folded Spill
	buffer_load_b128 v[0:3], v0, s[12:15], null offen offset:144
	s_wait_loadcnt 0x0
	scratch_store_b128 off, v[0:3], off offset:176 ; 16-byte Folded Spill
	scratch_load_b32 v0, off, off offset:56 ; 4-byte Folded Reload
	s_wait_loadcnt 0x0
	ds_load_b128 v[61:64], v0
	ds_load_b128 v[57:60], v0 offset:1040
	ds_load_b128 v[53:56], v0 offset:2080
	ds_load_b128 v[49:52], v0 offset:3120
	ds_load_b128 v[45:48], v0 offset:4160
	ds_load_b128 v[41:44], v0 offset:5200
	ds_load_b128 v[37:40], v0 offset:6240
	ds_load_b128 v[33:36], v0 offset:7280
	scratch_load_b32 v0, off, off offset:620 ; 4-byte Folded Reload
	s_wait_loadcnt 0x0
	ds_load_2addr_b32 v[80:81], v0 offset0:28 offset1:60
	ds_load_2addr_b32 v[209:210], v0 offset0:93 offset1:125
	;; [unrolled: 1-line block ×4, first 2 shown]
	scratch_load_b32 v0, off, off offset:624 ; 4-byte Folded Reload
	s_wait_dscnt 0xb
	v_mov_b32_e32 v128, v61
	v_mov_b32_e32 v126, v61
	;; [unrolled: 1-line block ×5, first 2 shown]
	v_mov_b32_dpp v128, v128 dpp8:[2,2,2,2,2,2,2,2]
	v_mov_b32_dpp v126, v126 dpp8:[3,3,3,3,3,3,3,3]
	;; [unrolled: 1-line block ×5, first 2 shown]
	v_mov_b32_e32 v112, v62
	v_mov_b32_e32 v110, v62
	;; [unrolled: 1-line block ×5, first 2 shown]
	s_wait_dscnt 0x3
	v_dot2_f32_f16 v11, v126, v80, v120
	v_mov_b32_e32 v120, v61
	v_mov_b32_e32 v92, v63
	;; [unrolled: 1-line block ×5, first 2 shown]
	v_mov_b32_dpp v120, v120 dpp8:[6,6,6,6,6,6,6,6]
	v_mov_b32_dpp v112, v112 dpp8:[3,3,3,3,3,3,3,3]
	v_mov_b32_e32 v66, v57
	v_mov_b32_dpp v98, v98 dpp8:[3,3,3,3,3,3,3,3]
	v_mov_b32_dpp v110, v110 dpp8:[4,4,4,4,4,4,4,4]
	v_dual_mov_b32 v70, v57 :: v_dual_mov_b32 v253, v42
	s_wait_dscnt 0x2
	v_dot2_f32_f16 v19, v112, v209, v11
	v_mov_b32_dpp v66, v66 dpp8:[5,5,5,5,5,5,5,5]
	v_mov_b32_dpp v96, v96 dpp8:[4,4,4,4,4,4,4,4]
	v_mov_b32_dpp v70, v70 dpp8:[3,3,3,3,3,3,3,3]
	v_dual_mov_b32 v68, v57 :: v_dual_mov_b32 v255, v42
	s_wait_dscnt 0x1
	v_dot2_f32_f16 v27, v98, v211, v19
	v_mov_b32_dpp v106, v106 dpp8:[6,6,6,6,6,6,6,6]
	v_mov_b32_dpp v78, v78 dpp8:[6,6,6,6,6,6,6,6]
	;; [unrolled: 1-line block ×3, first 2 shown]
	v_mov_b32_e32 v116, v47
	v_mov_b32_e32 v104, v47
	v_mov_b32_e32 v102, v48
	v_mov_b32_e32 v100, v48
	v_mov_b32_e32 v90, v48
	v_mov_b32_dpp v116, v116 dpp8:[3,3,3,3,3,3,3,3]
	v_mov_b32_dpp v104, v104 dpp8:[5,5,5,5,5,5,5,5]
	;; [unrolled: 1-line block ×5, first 2 shown]
	v_mov_b32_e32 v248, v41
	v_mov_b32_e32 v250, v41
	v_mov_b32_dpp v253, v253 dpp8:[2,2,2,2,2,2,2,2]
	v_mov_b32_e32 v252, v42
	v_mov_b32_e32 v254, v42
	v_mov_b32_dpp v248, v248 dpp8:[4,4,4,4,4,4,4,4]
	v_mov_b32_dpp v250, v250 dpp8:[6,6,6,6,6,6,6,6]
	v_mov_b32_dpp v255, v255 dpp8:[4,4,4,4,4,4,4,4]
	v_mov_b32_dpp v252, v252 dpp8:[1,1,1,1,1,1,1,1]
	v_mov_b32_dpp v254, v254 dpp8:[3,3,3,3,3,3,3,3]
	s_wait_loadcnt 0x0
	ds_load_2addr_b32 v[215:216], v0 offset0:32 offset1:64
	ds_load_2addr_b32 v[217:218], v0 offset0:97 offset1:129
	;; [unrolled: 1-line block ×3, first 2 shown]
	scratch_load_b32 v1, off, off offset:608 ; 4-byte Folded Reload
	v_mov_b32_e32 v247, v41
	v_mov_b32_e32 v249, v41
	v_mov_b32_e32 v251, v42
	v_mov_b32_e32 v91, v38
	v_mov_b32_e32 v93, v38
	v_mov_b32_dpp v247, v247 dpp8:[3,3,3,3,3,3,3,3]
	v_mov_b32_dpp v249, v249 dpp8:[5,5,5,5,5,5,5,5]
	v_mov_b32_dpp v251, v251 dpp8:[0,0,0,0,0,0,0,0]
	v_mov_b32_dpp v91, v91 dpp8:[2,2,2,2,2,2,2,2]
	v_mov_b32_dpp v93, v93 dpp8:[4,4,4,4,4,4,4,4]
	v_mov_b32_e32 v19, v38
	v_mov_b32_e32 v95, v38
	v_mov_b32_e32 v97, v39
	v_mov_b32_e32 v99, v39
	v_mov_b32_e32 v101, v39
	v_mov_b32_dpp v19, v19 dpp8:[5,5,5,5,5,5,5,5]
	v_mov_b32_dpp v95, v95 dpp8:[6,6,6,6,6,6,6,6]
	v_mov_b32_dpp v97, v97 dpp8:[1,1,1,1,1,1,1,1]
	v_mov_b32_dpp v99, v99 dpp8:[3,3,3,3,3,3,3,3]
	v_mov_b32_dpp v101, v101 dpp8:[5,5,5,5,5,5,5,5]
	v_mov_b32_e32 v103, v40
	v_mov_b32_e32 v105, v40
	v_mov_b32_e32 v107, v40
	v_mov_b32_e32 v109, v40
	v_mov_b32_e32 v11, v33
	v_mov_b32_dpp v103, v103 dpp8:[0,0,0,0,0,0,0,0]
	v_mov_b32_dpp v105, v105 dpp8:[2,2,2,2,2,2,2,2]
	v_mov_b32_dpp v107, v107 dpp8:[4,4,4,4,4,4,4,4]
	v_mov_b32_dpp v109, v109 dpp8:[6,6,6,6,6,6,6,6]
	v_mov_b32_dpp v11, v11 dpp8:[0,0,0,0,0,0,0,0]
	v_mov_b32_e32 v111, v33
	v_mov_b32_e32 v113, v33
	v_mov_b32_e32 v115, v33
	v_mov_b32_e32 v119, v34
	v_mov_b32_e32 v121, v34
	v_mov_b32_dpp v111, v111 dpp8:[1,1,1,1,1,1,1,1]
	v_mov_b32_dpp v113, v113 dpp8:[3,3,3,3,3,3,3,3]
	v_mov_b32_dpp v115, v115 dpp8:[5,5,5,5,5,5,5,5]
	v_mov_b32_dpp v119, v119 dpp8:[2,2,2,2,2,2,2,2]
	v_mov_b32_dpp v121, v121 dpp8:[4,4,4,4,4,4,4,4]
	v_mov_b32_e32 v125, v35
	v_mov_b32_e32 v123, v34
	v_mov_b32_e32 v129, v35
	v_mov_b32_e32 v127, v35
	v_mov_b32_e32 v83, v36
	v_mov_b32_dpp v125, v125 dpp8:[1,1,1,1,1,1,1,1]
	v_mov_b32_dpp v123, v123 dpp8:[6,6,6,6,6,6,6,6]
	v_mov_b32_dpp v129, v129 dpp8:[5,5,5,5,5,5,5,5]
	v_mov_b32_dpp v127, v127 dpp8:[3,3,3,3,3,3,3,3]
	v_mov_b32_dpp v83, v83 dpp8:[0,0,0,0,0,0,0,0]
	s_wait_loadcnt 0x0
	v_add_nc_u32_e32 v0, 0x2600, v1
	ds_load_2addr_b32 v[221:222], v0 offset0:99 offset1:131
	scratch_load_b32 v0, off, off offset:628 ; 4-byte Folded Reload
	s_wait_loadcnt 0x0
	ds_load_2addr_b32 v[223:224], v0 offset0:36 offset1:68
	ds_load_2addr_b32 v[225:226], v0 offset0:101 offset1:133
	ds_load_2addr_b32 v[227:228], v0 offset0:166 offset1:198
	v_add_nc_u32_e32 v0, 0x2a00, v1
	ds_load_2addr_b32 v[229:230], v0 offset0:103 offset1:135
	scratch_load_b32 v0, off, off offset:632 ; 4-byte Folded Reload
	s_wait_loadcnt 0x0
	ds_load_2addr_b32 v[231:232], v0 offset0:40 offset1:72
	ds_load_2addr_b32 v[233:234], v0 offset0:105 offset1:137
	ds_load_2addr_b32 v[235:236], v0 offset0:170 offset1:202
	;; [unrolled: 7-line block ×4, first 2 shown]
	v_add_nc_u32_e32 v0, 0x3600, v1
	v_mov_b32_e32 v72, v57
	ds_load_2addr_b32 v[2:3], v0 offset0:115 offset1:147
	scratch_load_b32 v0, off, off offset:644 ; 4-byte Folded Reload
	s_wait_loadcnt 0x0
	ds_load_2addr_b32 v[85:86], v0 offset0:52 offset1:84
	ds_load_2addr_b32 v[4:5], v0 offset0:117 offset1:149
	;; [unrolled: 1-line block ×3, first 2 shown]
	v_add_nc_u32_e32 v0, 0x3a00, v1
	v_mov_b32_dpp v72, v72 dpp8:[6,6,6,6,6,6,6,6]
	scratch_store_b64 off, v[80:81], off offset:496 ; 8-byte Folded Spill
	ds_load_2addr_b32 v[117:118], v0 offset0:119 offset1:151
	scratch_load_b32 v0, off, off offset:648 ; 4-byte Folded Reload
	s_wait_dscnt 0x2
	scratch_store_b64 off, v[4:5], off offset:584 ; 8-byte Folded Spill
	s_wait_dscnt 0x1
	scratch_store_b64 off, v[6:7], off offset:592 ; 8-byte Folded Spill
	v_mov_b32_e32 v7, v34
	v_mov_b32_e32 v5, v34
	s_wait_dscnt 0x0
	scratch_store_b64 off, v[117:118], off offset:600 ; 8-byte Folded Spill
	v_mov_b32_dpp v7, v7 dpp8:[1,1,1,1,1,1,1,1]
	v_mov_b32_dpp v5, v5 dpp8:[5,5,5,5,5,5,5,5]
	s_wait_loadcnt 0x0
	ds_load_2addr_b32 v[8:9], v0 offset0:56 offset1:88
	s_wait_dscnt 0x0
	scratch_store_b64 off, v[8:9], off offset:48 ; 8-byte Folded Spill
	ds_load_2addr_b32 v[8:9], v0 offset0:121 offset1:153
	s_wait_dscnt 0x0
	scratch_store_b64 off, v[8:9], off offset:40 ; 8-byte Folded Spill
	ds_load_2addr_b32 v[8:9], v0 offset0:186 offset1:218
	v_add_nc_u32_e32 v0, 0x3e00, v1
	ds_load_2addr_b32 v[0:1], v0 offset0:123 offset1:155
	s_wait_dscnt 0x1
	scratch_store_b64 off, v[8:9], off offset:32 ; 8-byte Folded Spill
	s_wait_dscnt 0x0
	scratch_store_b64 off, v[0:1], off offset:24 ; 8-byte Folded Spill
	scratch_load_b32 v0, off, off offset:124 th:TH_LOAD_LU ; 4-byte Folded Reload
	v_mov_b32_e32 v1, v61
	s_delay_alu instid0(VALU_DEP_1) | instskip(SKIP_1) | instid1(VALU_DEP_1)
	v_mov_b32_dpp v1, v1 dpp8:[0,0,0,0,0,0,0,0]
	s_wait_loadcnt 0x0
	v_dot2_f32_f16 v8, v1, v80, v0
	v_mov_b32_e32 v0, v61
	s_delay_alu instid0(VALU_DEP_1)
	v_mov_b32_dpp v0, v0 dpp8:[1,1,1,1,1,1,1,1]
	s_clause 0x1
	scratch_store_b32 off, v1, off offset:304
	scratch_store_b32 off, v0, off offset:308
	v_dot2_f32_f16 v9, v0, v80, v124
	scratch_load_b32 v0, off, off offset:140 th:TH_LOAD_LU ; 4-byte Folded Reload
	v_mov_b32_e32 v124, v61
	s_delay_alu instid0(VALU_DEP_1) | instskip(NEXT) | instid1(VALU_DEP_1)
	v_mov_b32_dpp v124, v124 dpp8:[4,4,4,4,4,4,4,4]
	v_dot2_f32_f16 v12, v124, v80, v122
	v_mov_b32_e32 v122, v61
	v_mov_b32_dpp v61, v61 dpp8:[7,7,7,7,7,7,7,7]
	s_delay_alu instid0(VALU_DEP_3) | instskip(NEXT) | instid1(VALU_DEP_3)
	v_dot2_f32_f16 v20, v110, v209, v12
	v_mov_b32_dpp v122, v122 dpp8:[5,5,5,5,5,5,5,5]
	v_mov_b32_e32 v12, v40
	s_delay_alu instid0(VALU_DEP_3) | instskip(SKIP_1) | instid1(VALU_DEP_3)
	v_dot2_f32_f16 v28, v96, v211, v20
	v_mov_b32_e32 v20, v38
	v_mov_b32_dpp v12, v12 dpp8:[5,5,5,5,5,5,5,5]
	s_delay_alu instid0(VALU_DEP_2)
	v_mov_b32_dpp v20, v20 dpp8:[3,3,3,3,3,3,3,3]
	s_wait_loadcnt 0x0
	v_dot2_f32_f16 v10, v128, v80, v0
	scratch_load_b32 v0, off, off offset:132 th:TH_LOAD_LU ; 4-byte Folded Reload
	v_dot2_f32_f16 v18, v114, v209, v10
	v_mov_b32_e32 v10, v33
	s_delay_alu instid0(VALU_DEP_1)
	v_mov_b32_dpp v10, v10 dpp8:[2,2,2,2,2,2,2,2]
	s_wait_loadcnt 0x0
	v_dot2_f32_f16 v13, v122, v80, v0
	scratch_load_b32 v0, off, off offset:128 th:TH_LOAD_LU ; 4-byte Folded Reload
	v_dot2_f32_f16 v21, v108, v209, v13
	v_mov_b32_e32 v13, v40
	s_delay_alu instid0(VALU_DEP_2) | instskip(SKIP_1) | instid1(VALU_DEP_3)
	v_dot2_f32_f16 v29, v94, v211, v21
	v_mov_b32_e32 v21, v38
	v_mov_b32_dpp v13, v13 dpp8:[3,3,3,3,3,3,3,3]
	s_delay_alu instid0(VALU_DEP_2)
	v_mov_b32_dpp v21, v21 dpp8:[1,1,1,1,1,1,1,1]
	s_wait_loadcnt 0x0
	v_dot2_f32_f16 v14, v120, v80, v0
	scratch_load_b32 v0, off, off offset:136 th:TH_LOAD_LU ; 4-byte Folded Reload
	v_dot2_f32_f16 v22, v106, v209, v14
	v_mov_b32_e32 v14, v40
	v_mov_b32_dpp v40, v40 dpp8:[7,7,7,7,7,7,7,7]
	s_delay_alu instid0(VALU_DEP_2) | instskip(SKIP_3) | instid1(VALU_DEP_1)
	v_mov_b32_dpp v14, v14 dpp8:[1,1,1,1,1,1,1,1]
	s_wait_loadcnt 0x0
	v_dot2_f32_f16 v15, v61, v80, v0
	v_mov_b32_e32 v0, v62
	v_mov_b32_dpp v0, v0 dpp8:[0,0,0,0,0,0,0,0]
	scratch_store_b32 off, v0, off offset:312 ; 4-byte Folded Spill
	v_dot2_f32_f16 v16, v0, v209, v8
	v_mov_b32_e32 v0, v62
	v_mov_b32_dpp v62, v62 dpp8:[7,7,7,7,7,7,7,7]
	v_mov_b32_e32 v8, v33
	s_delay_alu instid0(VALU_DEP_3) | instskip(NEXT) | instid1(VALU_DEP_3)
	v_mov_b32_dpp v0, v0 dpp8:[1,1,1,1,1,1,1,1]
	v_dot2_f32_f16 v23, v62, v209, v15
	v_mov_b32_e32 v15, v39
	s_delay_alu instid0(VALU_DEP_4)
	v_mov_b32_dpp v8, v8 dpp8:[6,6,6,6,6,6,6,6]
	scratch_store_b32 off, v0, off offset:316 ; 4-byte Folded Spill
	v_dot2_f32_f16 v17, v0, v209, v9
	v_dual_mov_b32 v0, v63 :: v_dual_mov_b32 v9, v33
	v_mov_b32_dpp v15, v15 dpp8:[6,6,6,6,6,6,6,6]
	v_mov_b32_dpp v33, v33 dpp8:[7,7,7,7,7,7,7,7]
	s_delay_alu instid0(VALU_DEP_3) | instskip(NEXT) | instid1(VALU_DEP_4)
	v_mov_b32_dpp v0, v0 dpp8:[0,0,0,0,0,0,0,0]
	v_mov_b32_dpp v9, v9 dpp8:[4,4,4,4,4,4,4,4]
	scratch_store_b32 off, v0, off offset:320 ; 4-byte Folded Spill
	v_dot2_f32_f16 v24, v0, v211, v16
	v_mov_b32_e32 v0, v63
	v_mov_b32_e32 v16, v39
	s_delay_alu instid0(VALU_DEP_2) | instskip(NEXT) | instid1(VALU_DEP_2)
	v_mov_b32_dpp v0, v0 dpp8:[1,1,1,1,1,1,1,1]
	v_mov_b32_dpp v16, v16 dpp8:[4,4,4,4,4,4,4,4]
	scratch_store_b32 off, v0, off offset:324 ; 4-byte Folded Spill
	v_dot2_f32_f16 v25, v0, v211, v17
	v_mov_b32_e32 v0, v63
	v_mov_b32_dpp v63, v63 dpp8:[7,7,7,7,7,7,7,7]
	v_mov_b32_e32 v17, v39
	s_delay_alu instid0(VALU_DEP_3) | instskip(NEXT) | instid1(VALU_DEP_3)
	v_mov_b32_dpp v0, v0 dpp8:[2,2,2,2,2,2,2,2]
	v_dot2_f32_f16 v31, v63, v211, v23
	v_mov_b32_e32 v23, v37
	s_delay_alu instid0(VALU_DEP_4)
	v_mov_b32_dpp v17, v17 dpp8:[2,2,2,2,2,2,2,2]
	scratch_store_b32 off, v0, off offset:328 ; 4-byte Folded Spill
	v_dot2_f32_f16 v26, v0, v211, v18
	v_mov_b32_e32 v0, v64
	v_mov_b32_dpp v23, v23 dpp8:[4,4,4,4,4,4,4,4]
	v_mov_b32_e32 v18, v39
	v_mov_b32_dpp v39, v39 dpp8:[7,7,7,7,7,7,7,7]
	s_delay_alu instid0(VALU_DEP_4) | instskip(NEXT) | instid1(VALU_DEP_3)
	v_mov_b32_dpp v0, v0 dpp8:[0,0,0,0,0,0,0,0]
	v_mov_b32_dpp v18, v18 dpp8:[0,0,0,0,0,0,0,0]
	scratch_store_b32 off, v0, off offset:332 ; 4-byte Folded Spill
	v_dot2_f32_f16 v32, v0, v213, v24
	v_mov_b32_e32 v0, v64
	v_mov_b32_e32 v24, v37
	s_delay_alu instid0(VALU_DEP_2) | instskip(NEXT) | instid1(VALU_DEP_2)
	v_mov_b32_dpp v0, v0 dpp8:[1,1,1,1,1,1,1,1]
	v_mov_b32_dpp v24, v24 dpp8:[2,2,2,2,2,2,2,2]
	scratch_store_b32 off, v0, off offset:336 ; 4-byte Folded Spill
	v_dot2_f32_f16 v65, v0, v213, v25
	v_dual_mov_b32 v0, v64 :: v_dual_mov_b32 v25, v37
	s_delay_alu instid0(VALU_DEP_1) | instskip(NEXT) | instid1(VALU_DEP_2)
	v_mov_b32_dpp v0, v0 dpp8:[2,2,2,2,2,2,2,2]
	v_mov_b32_dpp v25, v25 dpp8:[0,0,0,0,0,0,0,0]
	scratch_store_b32 off, v0, off offset:340 ; 4-byte Folded Spill
	v_dot2_f32_f16 v130, v0, v213, v26
	v_mov_b32_e32 v0, v64
	v_mov_b32_dpp v64, v64 dpp8:[7,7,7,7,7,7,7,7]
	v_mov_b32_e32 v26, v44
	s_delay_alu instid0(VALU_DEP_3) | instskip(NEXT) | instid1(VALU_DEP_3)
	v_mov_b32_dpp v0, v0 dpp8:[5,5,5,5,5,5,5,5]
	v_dot2_f32_f16 v135, v64, v213, v31
	v_mov_b32_e32 v31, v43
	s_delay_alu instid0(VALU_DEP_4) | instskip(SKIP_4) | instid1(VALU_DEP_3)
	v_mov_b32_dpp v26, v26 dpp8:[5,5,5,5,5,5,5,5]
	scratch_store_b32 off, v0, off offset:344 ; 4-byte Folded Spill
	v_dot2_f32_f16 v133, v0, v213, v29
	v_dual_mov_b32 v0, v57 :: v_dual_mov_b32 v29, v43
	v_mov_b32_dpp v31, v31 dpp8:[2,2,2,2,2,2,2,2]
	v_dot2_f32_f16 v141, v66, v215, v133
	s_delay_alu instid0(VALU_DEP_3)
	v_mov_b32_dpp v0, v0 dpp8:[0,0,0,0,0,0,0,0]
	v_mov_b32_e32 v133, v48
	v_mov_b32_dpp v84, v84 dpp8:[3,3,3,3,3,3,3,3]
	v_mov_b32_dpp v29, v29 dpp8:[6,6,6,6,6,6,6,6]
	scratch_store_b32 off, v0, off offset:348 ; 4-byte Folded Spill
	v_dot2_f32_f16 v136, v0, v215, v32
	v_mov_b32_e32 v0, v57
	v_dot2_f32_f16 v131, v84, v213, v27
	v_mov_b32_e32 v27, v44
	v_mov_b32_dpp v133, v133 dpp8:[1,1,1,1,1,1,1,1]
	v_mov_b32_e32 v32, v43
	v_mov_b32_dpp v0, v0 dpp8:[1,1,1,1,1,1,1,1]
	v_dot2_f32_f16 v139, v70, v215, v131
	v_mov_b32_e32 v131, v48
	v_mov_b32_dpp v82, v82 dpp8:[4,4,4,4,4,4,4,4]
	v_mov_b32_dpp v32, v32 dpp8:[0,0,0,0,0,0,0,0]
	scratch_store_b32 off, v0, off offset:380 ; 4-byte Folded Spill
	v_dot2_f32_f16 v137, v0, v215, v65
	v_mov_b32_e32 v0, v57
	v_dot2_f32_f16 v132, v82, v213, v28
	v_mov_b32_dpp v57, v57 dpp8:[7,7,7,7,7,7,7,7]
	v_mov_b32_e32 v65, v35
	v_mov_b32_dpp v131, v131 dpp8:[5,5,5,5,5,5,5,5]
	v_mov_b32_dpp v0, v0 dpp8:[2,2,2,2,2,2,2,2]
	v_dot2_f32_f16 v140, v68, v215, v132
	v_dot2_f32_f16 v143, v57, v215, v135
	v_dual_mov_b32 v135, v47 :: v_dual_mov_b32 v132, v48
	scratch_store_b32 off, v0, off offset:384 ; 4-byte Folded Spill
	v_dot2_f32_f16 v138, v0, v215, v130
	v_mov_b32_e32 v0, v58
	v_mov_b32_dpp v135, v135 dpp8:[4,4,4,4,4,4,4,4]
	v_mov_b32_dpp v132, v132 dpp8:[3,3,3,3,3,3,3,3]
	v_mov_b32_e32 v130, v41
	v_mov_b32_e32 v28, v44
	v_mov_b32_dpp v0, v0 dpp8:[0,0,0,0,0,0,0,0]
	v_mov_b32_dpp v27, v27 dpp8:[3,3,3,3,3,3,3,3]
	;; [unrolled: 1-line block ×5, first 2 shown]
	scratch_store_b32 off, v0, off offset:388 ; 4-byte Folded Spill
	v_dot2_f32_f16 v144, v0, v217, v136
	v_mov_b32_e32 v0, v58
	v_mov_b32_e32 v136, v47
	s_delay_alu instid0(VALU_DEP_2) | instskip(NEXT) | instid1(VALU_DEP_2)
	v_mov_b32_dpp v0, v0 dpp8:[1,1,1,1,1,1,1,1]
	v_mov_b32_dpp v136, v136 dpp8:[1,1,1,1,1,1,1,1]
	scratch_store_b32 off, v0, off offset:392 ; 4-byte Folded Spill
	v_dot2_f32_f16 v145, v0, v217, v137
	v_dual_mov_b32 v0, v58 :: v_dual_mov_b32 v137, v47
	s_delay_alu instid0(VALU_DEP_1) | instskip(NEXT) | instid1(VALU_DEP_2)
	v_mov_b32_dpp v0, v0 dpp8:[2,2,2,2,2,2,2,2]
	v_mov_b32_dpp v137, v137 dpp8:[2,2,2,2,2,2,2,2]
	scratch_store_b32 off, v0, off offset:396 ; 4-byte Folded Spill
	v_dot2_f32_f16 v146, v0, v217, v138
	v_mov_b32_e32 v0, v58
	v_mov_b32_e32 v138, v46
	s_delay_alu instid0(VALU_DEP_2) | instskip(NEXT) | instid1(VALU_DEP_2)
	v_mov_b32_dpp v0, v0 dpp8:[3,3,3,3,3,3,3,3]
	v_mov_b32_dpp v138, v138 dpp8:[4,4,4,4,4,4,4,4]
	scratch_store_b32 off, v0, off offset:400 ; 4-byte Folded Spill
	v_dot2_f32_f16 v147, v0, v217, v139
	v_dual_mov_b32 v0, v58 :: v_dual_mov_b32 v139, v46
	s_delay_alu instid0(VALU_DEP_1) | instskip(NEXT) | instid1(VALU_DEP_2)
	v_mov_b32_dpp v0, v0 dpp8:[4,4,4,4,4,4,4,4]
	v_mov_b32_dpp v139, v139 dpp8:[5,5,5,5,5,5,5,5]
	scratch_store_b32 off, v0, off offset:404 ; 4-byte Folded Spill
	v_dot2_f32_f16 v148, v0, v217, v140
	v_mov_b32_e32 v0, v58
	v_mov_b32_e32 v140, v46
	s_delay_alu instid0(VALU_DEP_2) | instskip(NEXT) | instid1(VALU_DEP_2)
	v_mov_b32_dpp v0, v0 dpp8:[5,5,5,5,5,5,5,5]
	v_mov_b32_dpp v140, v140 dpp8:[6,6,6,6,6,6,6,6]
	s_delay_alu instid0(VALU_DEP_2)
	v_dot2_f32_f16 v149, v0, v217, v141
	v_mov_b32_e32 v141, v46
	v_mov_b32_dpp v92, v92 dpp8:[6,6,6,6,6,6,6,6]
	scratch_store_b32 off, v0, off offset:408 ; 4-byte Folded Spill
	v_mov_b32_e32 v0, v58
	v_mov_b32_dpp v58, v58 dpp8:[7,7,7,7,7,7,7,7]
	v_mov_b32_dpp v141, v141 dpp8:[2,2,2,2,2,2,2,2]
	v_dot2_f32_f16 v30, v92, v211, v22
	v_mov_b32_e32 v22, v37
	v_mov_b32_dpp v0, v0 dpp8:[6,6,6,6,6,6,6,6]
	v_dot2_f32_f16 v151, v58, v217, v143
	v_mov_b32_e32 v143, v46
	v_dot2_f32_f16 v134, v78, v213, v30
	v_mov_b32_e32 v30, v43
	scratch_store_b32 off, v0, off offset:412 ; 4-byte Folded Spill
	v_mov_b32_dpp v22, v22 dpp8:[6,6,6,6,6,6,6,6]
	v_mov_b32_dpp v143, v143 dpp8:[0,0,0,0,0,0,0,0]
	v_dot2_f32_f16 v142, v72, v215, v134
	v_mov_b32_e32 v134, v47
	v_mov_b32_dpp v30, v30 dpp8:[4,4,4,4,4,4,4,4]
	s_delay_alu instid0(VALU_DEP_3) | instskip(SKIP_4) | instid1(VALU_DEP_4)
	v_dot2_f32_f16 v150, v0, v217, v142
	v_mov_b32_e32 v0, v59
	v_mov_b32_e32 v142, v47
	v_mov_b32_dpp v134, v134 dpp8:[6,6,6,6,6,6,6,6]
	v_mov_b32_dpp v47, v47 dpp8:[7,7,7,7,7,7,7,7]
	;; [unrolled: 1-line block ×3, first 2 shown]
	s_delay_alu instid0(VALU_DEP_4) | instskip(SKIP_4) | instid1(VALU_DEP_2)
	v_mov_b32_dpp v142, v142 dpp8:[0,0,0,0,0,0,0,0]
	scratch_store_b32 off, v0, off offset:416 ; 4-byte Folded Spill
	v_dot2_f32_f16 v152, v0, v219, v144
	v_mov_b32_e32 v0, v59
	v_mov_b32_e32 v144, v45
	v_mov_b32_dpp v0, v0 dpp8:[1,1,1,1,1,1,1,1]
	s_delay_alu instid0(VALU_DEP_2) | instskip(SKIP_3) | instid1(VALU_DEP_1)
	v_mov_b32_dpp v144, v144 dpp8:[6,6,6,6,6,6,6,6]
	scratch_store_b32 off, v0, off offset:420 ; 4-byte Folded Spill
	v_dot2_f32_f16 v153, v0, v219, v145
	v_dual_mov_b32 v0, v59 :: v_dual_mov_b32 v145, v45
	v_mov_b32_dpp v0, v0 dpp8:[2,2,2,2,2,2,2,2]
	s_delay_alu instid0(VALU_DEP_2) | instskip(SKIP_4) | instid1(VALU_DEP_2)
	v_mov_b32_dpp v145, v145 dpp8:[5,5,5,5,5,5,5,5]
	scratch_store_b32 off, v0, off offset:424 ; 4-byte Folded Spill
	v_dot2_f32_f16 v154, v0, v219, v146
	v_mov_b32_e32 v0, v59
	v_mov_b32_e32 v146, v45
	v_mov_b32_dpp v0, v0 dpp8:[3,3,3,3,3,3,3,3]
	s_delay_alu instid0(VALU_DEP_2) | instskip(SKIP_3) | instid1(VALU_DEP_1)
	v_mov_b32_dpp v146, v146 dpp8:[4,4,4,4,4,4,4,4]
	scratch_store_b32 off, v0, off offset:428 ; 4-byte Folded Spill
	v_dot2_f32_f16 v155, v0, v219, v147
	v_dual_mov_b32 v0, v59 :: v_dual_mov_b32 v147, v45
	v_mov_b32_dpp v0, v0 dpp8:[4,4,4,4,4,4,4,4]
	s_delay_alu instid0(VALU_DEP_2) | instskip(SKIP_4) | instid1(VALU_DEP_2)
	v_mov_b32_dpp v147, v147 dpp8:[3,3,3,3,3,3,3,3]
	scratch_store_b32 off, v0, off offset:432 ; 4-byte Folded Spill
	v_dot2_f32_f16 v156, v0, v219, v148
	v_mov_b32_e32 v0, v59
	v_mov_b32_e32 v148, v45
	v_mov_b32_dpp v0, v0 dpp8:[5,5,5,5,5,5,5,5]
	s_delay_alu instid0(VALU_DEP_2)
	v_mov_b32_dpp v148, v148 dpp8:[2,2,2,2,2,2,2,2]
	scratch_store_b32 off, v0, off offset:436 ; 4-byte Folded Spill
	v_dot2_f32_f16 v157, v0, v219, v149
	v_mov_b32_e32 v0, v59
	v_mov_b32_dpp v59, v59 dpp8:[7,7,7,7,7,7,7,7]
	v_mov_b32_e32 v149, v45
	s_delay_alu instid0(VALU_DEP_3) | instskip(NEXT) | instid1(VALU_DEP_3)
	v_mov_b32_dpp v0, v0 dpp8:[6,6,6,6,6,6,6,6]
	v_dot2_f32_f16 v159, v59, v219, v151
	v_mov_b32_e32 v151, v52
	s_delay_alu instid0(VALU_DEP_4)
	v_mov_b32_dpp v149, v149 dpp8:[1,1,1,1,1,1,1,1]
	scratch_store_b32 off, v0, off offset:440 ; 4-byte Folded Spill
	v_dot2_f32_f16 v158, v0, v219, v150
	v_mov_b32_e32 v0, v60
	v_mov_b32_dpp v151, v151 dpp8:[6,6,6,6,6,6,6,6]
	v_mov_b32_e32 v150, v45
	v_mov_b32_dpp v45, v45 dpp8:[7,7,7,7,7,7,7,7]
	s_delay_alu instid0(VALU_DEP_4) | instskip(NEXT) | instid1(VALU_DEP_3)
	v_mov_b32_dpp v0, v0 dpp8:[0,0,0,0,0,0,0,0]
	v_mov_b32_dpp v150, v150 dpp8:[0,0,0,0,0,0,0,0]
	scratch_store_b32 off, v0, off offset:444 ; 4-byte Folded Spill
	v_dot2_f32_f16 v160, v0, v221, v152
	v_mov_b32_e32 v0, v60
	v_mov_b32_e32 v152, v52
	s_delay_alu instid0(VALU_DEP_2) | instskip(NEXT) | instid1(VALU_DEP_2)
	v_mov_b32_dpp v0, v0 dpp8:[1,1,1,1,1,1,1,1]
	v_mov_b32_dpp v152, v152 dpp8:[5,5,5,5,5,5,5,5]
	scratch_store_b32 off, v0, off offset:448 ; 4-byte Folded Spill
	v_dot2_f32_f16 v161, v0, v221, v153
	v_dual_mov_b32 v0, v60 :: v_dual_mov_b32 v153, v52
	s_delay_alu instid0(VALU_DEP_1) | instskip(NEXT) | instid1(VALU_DEP_2)
	v_mov_b32_dpp v0, v0 dpp8:[2,2,2,2,2,2,2,2]
	v_mov_b32_dpp v153, v153 dpp8:[4,4,4,4,4,4,4,4]
	scratch_store_b32 off, v0, off offset:452 ; 4-byte Folded Spill
	v_dot2_f32_f16 v162, v0, v221, v154
	v_mov_b32_e32 v0, v60
	v_mov_b32_e32 v154, v46
	s_delay_alu instid0(VALU_DEP_2) | instskip(NEXT) | instid1(VALU_DEP_2)
	v_mov_b32_dpp v0, v0 dpp8:[3,3,3,3,3,3,3,3]
	v_mov_b32_dpp v154, v154 dpp8:[3,3,3,3,3,3,3,3]
	scratch_store_b32 off, v0, off offset:456 ; 4-byte Folded Spill
	v_dot2_f32_f16 v163, v0, v221, v155
	v_dual_mov_b32 v0, v60 :: v_dual_mov_b32 v155, v52
	s_delay_alu instid0(VALU_DEP_1) | instskip(NEXT) | instid1(VALU_DEP_2)
	v_mov_b32_dpp v0, v0 dpp8:[4,4,4,4,4,4,4,4]
	v_mov_b32_dpp v155, v155 dpp8:[2,2,2,2,2,2,2,2]
	scratch_store_b32 off, v0, off offset:460 ; 4-byte Folded Spill
	v_dot2_f32_f16 v164, v0, v221, v156
	v_mov_b32_e32 v0, v60
	v_mov_b32_e32 v156, v52
	s_delay_alu instid0(VALU_DEP_2) | instskip(NEXT) | instid1(VALU_DEP_2)
	v_mov_b32_dpp v0, v0 dpp8:[5,5,5,5,5,5,5,5]
	v_mov_b32_dpp v156, v156 dpp8:[0,0,0,0,0,0,0,0]
	scratch_store_b32 off, v0, off offset:464 ; 4-byte Folded Spill
	v_dot2_f32_f16 v165, v0, v221, v157
	v_mov_b32_e32 v0, v60
	v_mov_b32_dpp v60, v60 dpp8:[7,7,7,7,7,7,7,7]
	v_mov_b32_e32 v157, v46
	v_mov_b32_dpp v46, v46 dpp8:[7,7,7,7,7,7,7,7]
	s_delay_alu instid0(VALU_DEP_4) | instskip(NEXT) | instid1(VALU_DEP_4)
	v_mov_b32_dpp v0, v0 dpp8:[6,6,6,6,6,6,6,6]
	v_dot2_f32_f16 v159, v60, v221, v159
	s_delay_alu instid0(VALU_DEP_4) | instskip(SKIP_4) | instid1(VALU_DEP_2)
	v_mov_b32_dpp v157, v157 dpp8:[1,1,1,1,1,1,1,1]
	scratch_store_b32 off, v0, off offset:468 ; 4-byte Folded Spill
	v_dot2_f32_f16 v166, v0, v221, v158
	v_mov_b32_e32 v0, v53
	v_mov_b32_e32 v158, v52
	v_mov_b32_dpp v0, v0 dpp8:[0,0,0,0,0,0,0,0]
	s_delay_alu instid0(VALU_DEP_2) | instskip(SKIP_3) | instid1(VALU_DEP_1)
	v_mov_b32_dpp v158, v158 dpp8:[3,3,3,3,3,3,3,3]
	scratch_store_b32 off, v0, off offset:504 ; 4-byte Folded Spill
	v_dot2_f32_f16 v160, v0, v223, v160
	v_mov_b32_e32 v0, v53
	v_mov_b32_dpp v0, v0 dpp8:[1,1,1,1,1,1,1,1]
	scratch_store_b32 off, v0, off offset:508 ; 4-byte Folded Spill
	v_dot2_f32_f16 v161, v0, v223, v161
	v_mov_b32_e32 v0, v53
	s_delay_alu instid0(VALU_DEP_1) | instskip(SKIP_3) | instid1(VALU_DEP_1)
	v_mov_b32_dpp v0, v0 dpp8:[2,2,2,2,2,2,2,2]
	scratch_store_b32 off, v0, off offset:512 ; 4-byte Folded Spill
	v_dot2_f32_f16 v162, v0, v223, v162
	v_mov_b32_e32 v0, v53
	v_mov_b32_dpp v0, v0 dpp8:[3,3,3,3,3,3,3,3]
	scratch_store_b32 off, v0, off offset:516 ; 4-byte Folded Spill
	v_dot2_f32_f16 v163, v0, v223, v163
	v_mov_b32_e32 v0, v53
	s_delay_alu instid0(VALU_DEP_1) | instskip(SKIP_3) | instid1(VALU_DEP_1)
	v_mov_b32_dpp v0, v0 dpp8:[4,4,4,4,4,4,4,4]
	scratch_store_b32 off, v0, off offset:520 ; 4-byte Folded Spill
	v_dot2_f32_f16 v164, v0, v223, v164
	v_mov_b32_e32 v0, v53
	v_mov_b32_dpp v0, v0 dpp8:[5,5,5,5,5,5,5,5]
	scratch_store_b32 off, v0, off offset:524 ; 4-byte Folded Spill
	v_dot2_f32_f16 v165, v0, v223, v165
	v_mov_b32_e32 v0, v53
	v_mov_b32_dpp v53, v53 dpp8:[7,7,7,7,7,7,7,7]
	s_delay_alu instid0(VALU_DEP_2) | instskip(NEXT) | instid1(VALU_DEP_2)
	v_mov_b32_dpp v0, v0 dpp8:[6,6,6,6,6,6,6,6]
	v_dot2_f32_f16 v167, v53, v223, v159
	v_mov_b32_e32 v159, v52
	v_mov_b32_dpp v52, v52 dpp8:[7,7,7,7,7,7,7,7]
	scratch_store_b32 off, v0, off offset:528 ; 4-byte Folded Spill
	v_dot2_f32_f16 v166, v0, v223, v166
	v_mov_b32_e32 v0, v54
	v_mov_b32_dpp v159, v159 dpp8:[1,1,1,1,1,1,1,1]
	s_delay_alu instid0(VALU_DEP_2) | instskip(NEXT) | instid1(VALU_DEP_1)
	v_mov_b32_dpp v0, v0 dpp8:[0,0,0,0,0,0,0,0]
	v_dot2_f32_f16 v168, v0, v225, v160
	v_mov_b32_e32 v160, v54
	scratch_store_b32 off, v0, off offset:532 ; 4-byte Folded Spill
	v_dual_mov_b32 v0, v245 :: v_dual_mov_b32 v1, v246
	scratch_store_b64 off, v[87:88], off offset:536 ; 8-byte Folded Spill
	v_mov_b32_dpp v160, v160 dpp8:[1,1,1,1,1,1,1,1]
	v_mov_b32_e32 v88, v48
	v_mov_b32_dpp v48, v48 dpp8:[7,7,7,7,7,7,7,7]
	v_dual_mov_b32 v245, v41 :: v_dual_mov_b32 v246, v41
	s_delay_alu instid0(VALU_DEP_4) | instskip(SKIP_2) | instid1(VALU_DEP_4)
	v_dot2_f32_f16 v169, v160, v225, v161
	v_mov_b32_e32 v161, v54
	v_mov_b32_dpp v88, v88 dpp8:[6,6,6,6,6,6,6,6]
	v_mov_b32_dpp v245, v245 dpp8:[1,1,1,1,1,1,1,1]
	;; [unrolled: 1-line block ×5, first 2 shown]
	scratch_store_b64 off, v[0:1], off offset:544 ; 8-byte Folded Spill
	v_dot2_f32_f16 v170, v161, v225, v162
	v_mov_b32_e32 v162, v54
	s_delay_alu instid0(VALU_DEP_1) | instskip(NEXT) | instid1(VALU_DEP_1)
	v_mov_b32_dpp v162, v162 dpp8:[3,3,3,3,3,3,3,3]
	v_dot2_f32_f16 v171, v162, v225, v163
	v_mov_b32_e32 v163, v54
	s_delay_alu instid0(VALU_DEP_1) | instskip(NEXT) | instid1(VALU_DEP_1)
	v_mov_b32_dpp v163, v163 dpp8:[4,4,4,4,4,4,4,4]
	;; [unrolled: 4-line block ×3, first 2 shown]
	v_dot2_f32_f16 v173, v164, v225, v165
	v_mov_b32_e32 v165, v54
	v_mov_b32_dpp v54, v54 dpp8:[7,7,7,7,7,7,7,7]
	s_delay_alu instid0(VALU_DEP_2) | instskip(NEXT) | instid1(VALU_DEP_2)
	v_mov_b32_dpp v165, v165 dpp8:[6,6,6,6,6,6,6,6]
	v_dot2_f32_f16 v175, v54, v225, v167
	v_mov_b32_e32 v167, v55
	s_delay_alu instid0(VALU_DEP_3) | instskip(SKIP_1) | instid1(VALU_DEP_3)
	v_dot2_f32_f16 v174, v165, v225, v166
	v_mov_b32_e32 v166, v55
	v_mov_b32_dpp v167, v167 dpp8:[1,1,1,1,1,1,1,1]
	s_delay_alu instid0(VALU_DEP_2) | instskip(NEXT) | instid1(VALU_DEP_2)
	v_mov_b32_dpp v166, v166 dpp8:[0,0,0,0,0,0,0,0]
	v_dot2_f32_f16 v177, v167, v227, v169
	v_mov_b32_e32 v169, v55
	s_delay_alu instid0(VALU_DEP_3) | instskip(SKIP_1) | instid1(VALU_DEP_3)
	;; [unrolled: 8-line block ×3, first 2 shown]
	v_dot2_f32_f16 v178, v168, v227, v170
	v_mov_b32_e32 v170, v55
	v_mov_b32_dpp v171, v171 dpp8:[5,5,5,5,5,5,5,5]
	s_delay_alu instid0(VALU_DEP_2) | instskip(NEXT) | instid1(VALU_DEP_2)
	v_mov_b32_dpp v170, v170 dpp8:[4,4,4,4,4,4,4,4]
	v_dot2_f32_f16 v181, v171, v227, v173
	v_mov_b32_e32 v173, v56
	s_delay_alu instid0(VALU_DEP_3) | instskip(SKIP_2) | instid1(VALU_DEP_4)
	v_dot2_f32_f16 v180, v170, v227, v172
	v_mov_b32_e32 v172, v55
	v_mov_b32_dpp v55, v55 dpp8:[7,7,7,7,7,7,7,7]
	v_mov_b32_dpp v173, v173 dpp8:[0,0,0,0,0,0,0,0]
	s_delay_alu instid0(VALU_DEP_3) | instskip(NEXT) | instid1(VALU_DEP_3)
	v_mov_b32_dpp v172, v172 dpp8:[6,6,6,6,6,6,6,6]
	v_dot2_f32_f16 v183, v55, v227, v175
	v_mov_b32_e32 v175, v56
	s_delay_alu instid0(VALU_DEP_4) | instskip(SKIP_4) | instid1(VALU_DEP_4)
	v_dot2_f32_f16 v184, v173, v229, v176
	v_mov_b32_e32 v176, v56
	v_dot2_f32_f16 v182, v172, v227, v174
	v_mov_b32_e32 v174, v56
	v_mov_b32_dpp v175, v175 dpp8:[2,2,2,2,2,2,2,2]
	v_mov_b32_dpp v176, v176 dpp8:[3,3,3,3,3,3,3,3]
	s_delay_alu instid0(VALU_DEP_3) | instskip(NEXT) | instid1(VALU_DEP_3)
	v_mov_b32_dpp v174, v174 dpp8:[1,1,1,1,1,1,1,1]
	v_dot2_f32_f16 v186, v175, v229, v178
	v_mov_b32_e32 v178, v56
	s_delay_alu instid0(VALU_DEP_4)
	v_dot2_f32_f16 v187, v176, v229, v179
	v_mov_b32_e32 v179, v56
	v_dot2_f32_f16 v185, v174, v229, v177
	v_mov_b32_e32 v177, v56
	v_mov_b32_dpp v178, v178 dpp8:[5,5,5,5,5,5,5,5]
	v_mov_b32_dpp v56, v56 dpp8:[7,7,7,7,7,7,7,7]
	;; [unrolled: 1-line block ×3, first 2 shown]
	s_delay_alu instid0(VALU_DEP_4) | instskip(NEXT) | instid1(VALU_DEP_4)
	v_mov_b32_dpp v177, v177 dpp8:[4,4,4,4,4,4,4,4]
	v_dot2_f32_f16 v189, v178, v229, v181
	v_mov_b32_e32 v181, v49
	s_delay_alu instid0(VALU_DEP_4)
	v_dot2_f32_f16 v190, v179, v229, v182
	v_dot2_f32_f16 v191, v56, v229, v183
	;; [unrolled: 1-line block ×3, first 2 shown]
	v_mov_b32_e32 v180, v49
	v_mov_b32_dpp v181, v181 dpp8:[1,1,1,1,1,1,1,1]
	v_dual_mov_b32 v182, v49 :: v_dual_mov_b32 v183, v49
	s_delay_alu instid0(VALU_DEP_3) | instskip(NEXT) | instid1(VALU_DEP_3)
	v_mov_b32_dpp v180, v180 dpp8:[0,0,0,0,0,0,0,0]
	v_dot2_f32_f16 v193, v181, v231, v185
	v_mov_b32_e32 v185, v49
	s_delay_alu instid0(VALU_DEP_4)
	v_mov_b32_dpp v182, v182 dpp8:[2,2,2,2,2,2,2,2]
	v_mov_b32_dpp v183, v183 dpp8:[3,3,3,3,3,3,3,3]
	v_dot2_f32_f16 v192, v180, v231, v184
	v_mov_b32_e32 v184, v49
	v_mov_b32_dpp v185, v185 dpp8:[5,5,5,5,5,5,5,5]
	v_dot2_f32_f16 v194, v182, v231, v186
	v_dot2_f32_f16 v195, v183, v231, v187
	v_mov_b32_e32 v186, v49
	v_mov_b32_dpp v184, v184 dpp8:[4,4,4,4,4,4,4,4]
	v_dot2_f32_f16 v197, v185, v231, v189
	v_mov_b32_e32 v187, v50
	v_mov_b32_e32 v189, v50
	v_mov_b32_dpp v186, v186 dpp8:[6,6,6,6,6,6,6,6]
	v_dot2_f32_f16 v196, v184, v231, v188
	v_mov_b32_e32 v188, v50
	v_mov_b32_dpp v49, v49 dpp8:[7,7,7,7,7,7,7,7]
	v_mov_b32_dpp v187, v187 dpp8:[0,0,0,0,0,0,0,0]
	;; [unrolled: 1-line block ×3, first 2 shown]
	v_dot2_f32_f16 v198, v186, v231, v190
	v_mov_b32_dpp v188, v188 dpp8:[1,1,1,1,1,1,1,1]
	v_dot2_f32_f16 v199, v49, v231, v191
	v_dot2_f32_f16 v200, v187, v233, v192
	;; [unrolled: 1-line block ×3, first 2 shown]
	v_mov_b32_e32 v190, v50
	v_dot2_f32_f16 v201, v188, v233, v193
	v_dual_mov_b32 v191, v50 :: v_dual_mov_b32 v192, v50
	v_dual_mov_b32 v193, v50 :: v_dual_mov_b32 v194, v51
	s_delay_alu instid0(VALU_DEP_4) | instskip(NEXT) | instid1(VALU_DEP_3)
	v_mov_b32_dpp v190, v190 dpp8:[3,3,3,3,3,3,3,3]
	v_mov_b32_dpp v191, v191 dpp8:[4,4,4,4,4,4,4,4]
	s_delay_alu instid0(VALU_DEP_4) | instskip(NEXT) | instid1(VALU_DEP_4)
	v_mov_b32_dpp v192, v192 dpp8:[5,5,5,5,5,5,5,5]
	v_mov_b32_dpp v193, v193 dpp8:[6,6,6,6,6,6,6,6]
	;; [unrolled: 1-line block ×4, first 2 shown]
	v_dot2_f32_f16 v203, v190, v233, v195
	v_dot2_f32_f16 v204, v191, v233, v196
	;; [unrolled: 1-line block ×6, first 2 shown]
	v_dual_mov_b32 v195, v51 :: v_dual_mov_b32 v196, v51
	v_dual_mov_b32 v197, v51 :: v_dual_mov_b32 v198, v51
	v_dual_mov_b32 v199, v51 :: v_dual_mov_b32 v200, v51
	s_delay_alu instid0(VALU_DEP_3) | instskip(NEXT) | instid1(VALU_DEP_4)
	v_mov_b32_dpp v195, v195 dpp8:[1,1,1,1,1,1,1,1]
	v_mov_b32_dpp v196, v196 dpp8:[2,2,2,2,2,2,2,2]
	s_delay_alu instid0(VALU_DEP_4)
	v_mov_b32_dpp v197, v197 dpp8:[3,3,3,3,3,3,3,3]
	v_mov_b32_dpp v198, v198 dpp8:[4,4,4,4,4,4,4,4]
	;; [unrolled: 1-line block ×5, first 2 shown]
	v_dot2_f32_f16 v201, v195, v235, v201
	v_dot2_f32_f16 v202, v196, v235, v202
	;; [unrolled: 1-line block ×55, first 2 shown]
	v_dual_mov_b32 v0, v73 :: v_dual_mov_b32 v1, v74
	scratch_store_b64 off, v[75:76], off offset:552 ; 8-byte Folded Spill
	v_mov_b32_e32 v76, v42
	v_dot2_f32_f16 v208, v251, v75, v208
	v_dot2_f32_f16 v202, v253, v75, v202
	;; [unrolled: 1-line block ×4, first 2 shown]
	v_mov_b32_dpp v76, v76 dpp8:[5,5,5,5,5,5,5,5]
	v_dot2_f32_f16 v69, v32, v0, v208
	v_mov_b32_e32 v208, v43
	v_dot2_f32_f16 v71, v31, v0, v202
	v_mov_b32_e32 v202, v43
	;; [unrolled: 2-line block ×3, first 2 shown]
	v_dot2_f32_f16 v203, v254, v75, v203
	v_mov_b32_dpp v42, v42 dpp8:[7,7,7,7,7,7,7,7]
	v_mov_b32_dpp v208, v208 dpp8:[1,1,1,1,1,1,1,1]
	;; [unrolled: 1-line block ×4, first 2 shown]
	v_dot2_f32_f16 v73, v30, v0, v204
	v_mov_b32_e32 v204, v43
	v_dot2_f32_f16 v207, v42, v75, v207
	v_dot2_f32_f16 v201, v208, v0, v201
	v_dot2_f32_f16 v206, v205, v75, v206
	v_dot2_f32_f16 v203, v202, v0, v203
	v_mov_b32_dpp v43, v43 dpp8:[7,7,7,7,7,7,7,7]
	v_mov_b32_dpp v204, v204 dpp8:[5,5,5,5,5,5,5,5]
	v_dot2_f32_f16 v77, v28, v2, v201
	v_dot2_f32_f16 v75, v29, v0, v206
	v_mov_b32_e32 v201, v44
	v_dot2_f32_f16 v206, v43, v0, v207
	v_mov_b32_e32 v207, v44
	v_dot2_f32_f16 v79, v27, v2, v203
	v_dual_mov_b32 v203, v44 :: v_dual_mov_b32 v74, v44
	scratch_store_b64 off, v[0:1], off offset:560 ; 8-byte Folded Spill
	v_dot2_f32_f16 v67, v204, v0, v67
	v_mov_b32_e32 v0, v85
	v_mov_b32_dpp v207, v207 dpp8:[0,0,0,0,0,0,0,0]
	v_mov_b32_dpp v201, v201 dpp8:[2,2,2,2,2,2,2,2]
	;; [unrolled: 1-line block ×5, first 2 shown]
	v_dual_mov_b32 v1, v86 :: v_dual_mov_b32 v86, v37
	v_mov_b32_e32 v85, v37
	v_mov_b32_e32 v87, v37
	v_dot2_f32_f16 v69, v207, v2, v69
	v_dot2_f32_f16 v71, v201, v2, v71
	;; [unrolled: 1-line block ×6, first 2 shown]
	v_mov_b32_dpp v86, v86 dpp8:[1,1,1,1,1,1,1,1]
	v_mov_b32_dpp v85, v85 dpp8:[3,3,3,3,3,3,3,3]
	;; [unrolled: 1-line block ×4, first 2 shown]
	s_clause 0x1
	scratch_store_b64 off, v[2:3], off offset:568
	scratch_store_b64 off, v[0:1], off offset:576
	v_dot2_f32_f16 v69, v25, v0, v69
	v_dot2_f32_f16 v77, v86, v0, v77
	;; [unrolled: 1-line block ×8, first 2 shown]
	scratch_load_b64 v[0:1], off, off offset:48 ; 8-byte Folded Reload
	v_mov_b32_e32 v206, v38
	v_mov_b32_dpp v38, v38 dpp8:[7,7,7,7,7,7,7,7]
	v_dot2_f32_f16 v77, v21, v4, v77
	v_dot2_f32_f16 v71, v91, v4, v71
	;; [unrolled: 1-line block ×3, first 2 shown]
	v_mov_b32_dpp v206, v206 dpp8:[0,0,0,0,0,0,0,0]
	v_dot2_f32_f16 v73, v93, v4, v73
	v_dot2_f32_f16 v67, v19, v4, v67
	;; [unrolled: 1-line block ×21, first 2 shown]
	v_dual_mov_b32 v117, v34 :: v_dual_mov_b32 v6, v34
	v_mov_b32_dpp v34, v34 dpp8:[7,7,7,7,7,7,7,7]
	v_dual_mov_b32 v4, v35 :: v_dual_mov_b32 v3, v35
	s_delay_alu instid0(VALU_DEP_3) | instskip(NEXT) | instid1(VALU_DEP_4)
	v_mov_b32_dpp v117, v117 dpp8:[0,0,0,0,0,0,0,0]
	v_mov_b32_dpp v6, v6 dpp8:[3,3,3,3,3,3,3,3]
	v_mov_b32_e32 v2, v35
	s_delay_alu instid0(VALU_DEP_4) | instskip(SKIP_2) | instid1(VALU_DEP_4)
	v_mov_b32_dpp v4, v4 dpp8:[0,0,0,0,0,0,0,0]
	v_mov_b32_dpp v3, v3 dpp8:[2,2,2,2,2,2,2,2]
	;; [unrolled: 1-line block ×4, first 2 shown]
	s_wait_loadcnt 0x0
	v_dot2_f32_f16 v69, v11, v0, v69
	v_dot2_f32_f16 v77, v111, v0, v77
	v_dot2_f32_f16 v71, v10, v0, v71
	v_dot2_f32_f16 v79, v113, v0, v79
	v_dot2_f32_f16 v73, v9, v0, v73
	v_dot2_f32_f16 v67, v115, v0, v67
	v_dot2_f32_f16 v75, v8, v0, v75
	v_dot2_f32_f16 v89, v33, v0, v89
	scratch_load_b64 v[0:1], off, off offset:40 ; 8-byte Folded Reload
	s_wait_loadcnt 0x0
	v_dot2_f32_f16 v69, v117, v0, v69
	v_dot2_f32_f16 v77, v7, v0, v77
	v_dot2_f32_f16 v71, v119, v0, v71
	v_dot2_f32_f16 v79, v6, v0, v79
	v_dot2_f32_f16 v73, v121, v0, v73
	v_dot2_f32_f16 v67, v5, v0, v67
	v_dot2_f32_f16 v75, v123, v0, v75
	v_dot2_f32_f16 v89, v34, v0, v89
	scratch_load_b64 v[0:1], off, off offset:32 ; 8-byte Folded Reload
	;; [unrolled: 10-line block ×3, first 2 shown]
	s_wait_loadcnt 0x0
	v_dot2_f32_f16 v69, v83, v0, v69
	scratch_store_b32 off, v69, off offset:124 ; 4-byte Folded Spill
	v_mov_b32_e32 v69, v36
	s_delay_alu instid0(VALU_DEP_1) | instskip(NEXT) | instid1(VALU_DEP_1)
	v_mov_b32_dpp v69, v69 dpp8:[1,1,1,1,1,1,1,1]
	v_dot2_f32_f16 v77, v69, v0, v77
	scratch_store_b32 off, v77, off offset:288 ; 4-byte Folded Spill
	v_mov_b32_e32 v77, v36
	s_delay_alu instid0(VALU_DEP_1) | instskip(NEXT) | instid1(VALU_DEP_1)
	v_mov_b32_dpp v77, v77 dpp8:[2,2,2,2,2,2,2,2]
	;; [unrolled: 5-line block ×5, first 2 shown]
	v_dot2_f32_f16 v67, v73, v0, v67
	scratch_store_b32 off, v67, off offset:132 ; 4-byte Folded Spill
	v_mov_b32_e32 v67, v36
	v_mov_b32_dpp v36, v36 dpp8:[7,7,7,7,7,7,7,7]
	s_delay_alu instid0(VALU_DEP_2) | instskip(NEXT) | instid1(VALU_DEP_1)
	v_mov_b32_dpp v67, v67 dpp8:[6,6,6,6,6,6,6,6]
	v_dot2_f32_f16 v75, v67, v0, v75
	scratch_store_b32 off, v75, off offset:128 ; 4-byte Folded Spill
	v_dot2_f32_f16 v75, v36, v0, v89
	scratch_load_b32 v0, off, off offset:304 th:TH_LOAD_LU ; 4-byte Folded Reload
	scratch_store_b32 off, v75, off offset:136 ; 4-byte Folded Spill
	scratch_load_b32 v75, off, off offset:104 th:TH_LOAD_LU ; 4-byte Folded Reload
	s_wait_loadcnt 0x0
	v_dot2_f32_f16 v75, v0, v81, v75
	s_clause 0x2
	scratch_load_b32 v89, off, off offset:96 th:TH_LOAD_LU
	scratch_load_b32 v0, off, off offset:308 th:TH_LOAD_LU
	;; [unrolled: 1-line block ×3, first 2 shown]
	s_clause 0x5
	scratch_store_b64 off, v[209:210], off offset:488
	scratch_store_b64 off, v[211:212], off offset:480
	;; [unrolled: 1-line block ×5, first 2 shown]
	scratch_store_b64 off, v[219:220], off
	s_wait_loadcnt 0x1
	v_dot2_f32_f16 v89, v0, v81, v89
	s_wait_loadcnt 0x0
	v_dot2_f32_f16 v128, v128, v81, v118
	s_clause 0x1
	scratch_load_b32 v118, off, off offset:88 th:TH_LOAD_LU
	scratch_load_b32 v0, off, off offset:312 th:TH_LOAD_LU
	v_dot2_f32_f16 v114, v114, v210, v128
	s_wait_loadcnt 0x1
	v_dot2_f32_f16 v126, v126, v81, v118
	scratch_load_b32 v118, off, off offset:84 th:TH_LOAD_LU ; 4-byte Folded Reload
	s_wait_loadcnt 0x1
	v_dot2_f32_f16 v75, v0, v210, v75
	scratch_load_b32 v0, off, off offset:316 th:TH_LOAD_LU ; 4-byte Folded Reload
	v_dot2_f32_f16 v112, v112, v210, v126
	s_delay_alu instid0(VALU_DEP_1) | instskip(NEXT) | instid1(VALU_DEP_1)
	v_dot2_f32_f16 v98, v98, v212, v112
	v_dot2_f32_f16 v84, v84, v214, v98
	s_delay_alu instid0(VALU_DEP_1) | instskip(SKIP_4) | instid1(VALU_DEP_1)
	v_dot2_f32_f16 v70, v70, v216, v84
	s_wait_loadcnt 0x1
	v_dot2_f32_f16 v124, v124, v81, v118
	scratch_load_b32 v118, off, off offset:80 th:TH_LOAD_LU ; 4-byte Folded Reload
	v_dot2_f32_f16 v110, v110, v210, v124
	v_dot2_f32_f16 v96, v96, v212, v110
	s_delay_alu instid0(VALU_DEP_1) | instskip(NEXT) | instid1(VALU_DEP_1)
	v_dot2_f32_f16 v82, v82, v214, v96
	v_dot2_f32_f16 v68, v68, v216, v82
	s_wait_loadcnt 0x0
	v_dot2_f32_f16 v122, v122, v81, v118
	scratch_load_b32 v118, off, off offset:76 th:TH_LOAD_LU ; 4-byte Folded Reload
	v_dot2_f32_f16 v108, v108, v210, v122
	s_delay_alu instid0(VALU_DEP_1) | instskip(SKIP_4) | instid1(VALU_DEP_1)
	v_dot2_f32_f16 v94, v94, v212, v108
	s_wait_loadcnt 0x0
	v_dot2_f32_f16 v120, v120, v81, v118
	scratch_load_b32 v118, off, off offset:68 th:TH_LOAD_LU ; 4-byte Folded Reload
	v_dot2_f32_f16 v106, v106, v210, v120
	v_dot2_f32_f16 v92, v92, v212, v106
	s_delay_alu instid0(VALU_DEP_1) | instskip(NEXT) | instid1(VALU_DEP_1)
	v_dot2_f32_f16 v78, v78, v214, v92
	v_dot2_f32_f16 v72, v72, v216, v78
	s_wait_loadcnt 0x0
	v_dot2_f32_f16 v61, v61, v81, v118
	scratch_load_b64 v[81:82], off, off offset:584 th:TH_LOAD_LU ; 8-byte Folded Reload
	v_dot2_f32_f16 v89, v0, v210, v89
	scratch_load_b32 v0, off, off offset:320 th:TH_LOAD_LU ; 4-byte Folded Reload
	v_dot2_f32_f16 v61, v62, v210, v61
	scratch_load_b64 v[209:210], off, off offset:536 th:TH_LOAD_LU ; 8-byte Folded Reload
	v_dot2_f32_f16 v61, v63, v212, v61
	s_delay_alu instid0(VALU_DEP_1) | instskip(NEXT) | instid1(VALU_DEP_1)
	v_dot2_f32_f16 v61, v64, v214, v61
	v_dot2_f32_f16 v57, v57, v216, v61
	s_delay_alu instid0(VALU_DEP_1) | instskip(NEXT) | instid1(VALU_DEP_1)
	v_dot2_f32_f16 v57, v58, v218, v57
	;; [unrolled: 3-line block ×8, first 2 shown]
	v_dot2_f32_f16 v45, v47, v244, v45
	s_wait_loadcnt 0x1
	v_dot2_f32_f16 v62, v0, v212, v75
	scratch_load_b32 v0, off, off offset:324 th:TH_LOAD_LU ; 4-byte Folded Reload
	s_wait_loadcnt 0x1
	v_dot2_f32_f16 v45, v48, v210, v45
	s_wait_loadcnt 0x0
	v_dot2_f32_f16 v75, v0, v212, v89
	scratch_load_b32 v0, off, off offset:328 th:TH_LOAD_LU ; 4-byte Folded Reload
	s_wait_loadcnt 0x0
	v_dot2_f32_f16 v89, v0, v212, v114
	s_clause 0x1
	scratch_load_b32 v0, off, off offset:332 th:TH_LOAD_LU
	scratch_load_b64 v[211:212], off, off offset:48 th:TH_LOAD_LU
	s_wait_loadcnt 0x1
	v_dot2_f32_f16 v62, v0, v214, v62
	scratch_load_b32 v0, off, off offset:336 th:TH_LOAD_LU ; 4-byte Folded Reload
	s_wait_loadcnt 0x0
	v_dot2_f32_f16 v63, v0, v214, v75
	scratch_load_b32 v0, off, off offset:340 th:TH_LOAD_LU ; 4-byte Folded Reload
	;; [unrolled: 3-line block ×3, first 2 shown]
	s_wait_loadcnt 0x0
	v_dot2_f32_f16 v80, v0, v214, v94
	s_clause 0x1
	scratch_load_b32 v0, off, off offset:348 th:TH_LOAD_LU
	scratch_load_b64 v[213:214], off, off offset:552 th:TH_LOAD_LU
	v_dot2_f32_f16 v66, v66, v216, v80
	s_wait_loadcnt 0x1
	v_dot2_f32_f16 v62, v0, v216, v62
	scratch_load_b32 v0, off, off offset:380 th:TH_LOAD_LU ; 4-byte Folded Reload
	s_wait_loadcnt 0x0
	v_dot2_f32_f16 v63, v0, v216, v63
	scratch_load_b32 v0, off, off offset:384 th:TH_LOAD_LU ; 4-byte Folded Reload
	s_wait_loadcnt 0x0
	v_dot2_f32_f16 v64, v0, v216, v75
	s_clause 0x1
	scratch_load_b32 v0, off, off offset:388 th:TH_LOAD_LU
	scratch_load_b64 v[215:216], off, off offset:544 th:TH_LOAD_LU
	s_wait_loadcnt 0x1
	v_dot2_f32_f16 v61, v0, v218, v62
	scratch_load_b32 v0, off, off offset:392 th:TH_LOAD_LU ; 4-byte Folded Reload
	s_wait_loadcnt 0x1
	v_dot2_f32_f16 v41, v41, v216, v45
	s_delay_alu instid0(VALU_DEP_1)
	v_dot2_f32_f16 v41, v42, v214, v41
	s_wait_loadcnt 0x0
	v_dot2_f32_f16 v62, v0, v218, v63
	scratch_load_b32 v0, off, off offset:396 th:TH_LOAD_LU ; 4-byte Folded Reload
	s_wait_loadcnt 0x0
	v_dot2_f32_f16 v63, v0, v218, v64
	scratch_load_b32 v0, off, off offset:400 th:TH_LOAD_LU ; 4-byte Folded Reload
	;; [unrolled: 3-line block ×6, first 2 shown]
	v_mov_b32_e32 v217, v241
	s_wait_loadcnt 0x0
	v_dot2_f32_f16 v58, v0, v220, v61
	scratch_load_b32 v0, off, off offset:420 th:TH_LOAD_LU ; 4-byte Folded Reload
	s_wait_loadcnt 0x0
	v_dot2_f32_f16 v61, v0, v220, v62
	scratch_load_b32 v0, off, off offset:424 th:TH_LOAD_LU ; 4-byte Folded Reload
	;; [unrolled: 3-line block ×7, first 2 shown]
	v_mov_b32_e32 v219, v223
	s_wait_loadcnt 0x0
	v_dot2_f32_f16 v58, v0, v222, v58
	scratch_load_b32 v0, off, off offset:448 th:TH_LOAD_LU ; 4-byte Folded Reload
	s_wait_loadcnt 0x0
	v_dot2_f32_f16 v59, v0, v222, v61
	scratch_load_b32 v0, off, off offset:452 th:TH_LOAD_LU ; 4-byte Folded Reload
	;; [unrolled: 3-line block ×14, first 2 shown]
	s_wait_loadcnt 0x0
	v_dot2_f32_f16 v57, v0, v226, v58
	v_dot2_f32_f16 v58, v160, v226, v59
	;; [unrolled: 1-line block ×28, first 2 shown]
	v_mov_b32_e32 v185, v231
	v_dot2_f32_f16 v53, v187, v234, v54
	v_dot2_f32_f16 v54, v188, v234, v55
	;; [unrolled: 1-line block ×48, first 2 shown]
	v_mov_b32_e32 v88, v209
	v_dot2_f32_f16 v46, v102, v210, v46
	v_mov_b32_e32 v89, v210
	scratch_load_b64 v[209:210], off, off offset:560 th:TH_LOAD_LU ; 8-byte Folded Reload
	v_dot2_f32_f16 v47, v245, v216, v47
	v_dot2_f32_f16 v48, v246, v216, v49
	;; [unrolled: 1-line block ×7, first 2 shown]
	scratch_load_b64 v[130:131], off, off offset:592 th:TH_LOAD_LU ; 8-byte Folded Reload
	v_dot2_f32_f16 v45, v251, v214, v46
	v_dot2_f32_f16 v46, v252, v214, v47
	v_dot2_f32_f16 v47, v253, v214, v48
	v_dot2_f32_f16 v48, v254, v214, v49
	v_dot2_f32_f16 v49, v255, v214, v50
	v_dot2_f32_f16 v50, v76, v214, v51
	v_dot2_f32_f16 v51, v205, v214, v52
	s_wait_loadcnt 0x1
	v_dot2_f32_f16 v42, v208, v210, v46
	s_delay_alu instid0(VALU_DEP_3)
	v_dot2_f32_f16 v46, v204, v210, v50
	v_mov_b32_e32 v204, v209
	v_dot2_f32_f16 v32, v32, v210, v45
	v_dot2_f32_f16 v31, v31, v210, v47
	;; [unrolled: 1-line block ×6, first 2 shown]
	v_mov_b32_e32 v205, v210
	scratch_load_b64 v[209:210], off, off offset:568 th:TH_LOAD_LU ; 8-byte Folded Reload
	s_wait_loadcnt 0x0
	v_dot2_f32_f16 v31, v201, v210, v31
	scratch_load_b64 v[200:201], off, off offset:576 th:TH_LOAD_LU ; 8-byte Folded Reload
	v_dot2_f32_f16 v28, v28, v210, v42
	v_dot2_f32_f16 v27, v27, v210, v45
	v_dot2_f32_f16 v32, v207, v210, v32
	v_dot2_f32_f16 v30, v203, v210, v30
	v_dot2_f32_f16 v26, v26, v210, v46
	v_dot2_f32_f16 v29, v74, v210, v29
	v_dot2_f32_f16 v41, v44, v210, v41
	s_wait_loadcnt 0x0
	v_dot2_f32_f16 v28, v86, v201, v28
	v_dot2_f32_f16 v27, v85, v201, v27
	scratch_load_b64 v[85:86], off, off offset:600 th:TH_LOAD_LU ; 8-byte Folded Reload
	v_dot2_f32_f16 v25, v25, v201, v32
	v_dot2_f32_f16 v24, v24, v201, v31
	;; [unrolled: 1-line block ×7, first 2 shown]
	scratch_load_b64 v[206:207], off, off offset:40 th:TH_LOAD_LU ; 8-byte Folded Reload
	v_dot2_f32_f16 v24, v91, v82, v24
	scratch_load_b64 v[91:92], off, off offset:32 th:TH_LOAD_LU ; 8-byte Folded Reload
	v_dot2_f32_f16 v23, v93, v82, v23
	;; [unrolled: 2-line block ×3, first 2 shown]
	v_dot2_f32_f16 v20, v20, v82, v27
	v_dot2_f32_f16 v19, v19, v82, v26
	;; [unrolled: 1-line block ×11, first 2 shown]
	s_delay_alu instid0(VALU_DEP_2)
	v_dot2_f32_f16 v22, v39, v131, v26
	s_wait_loadcnt 0x3
	v_dot2_f32_f16 v18, v103, v86, v18
	v_dot2_f32_f16 v14, v14, v86, v21
	;; [unrolled: 1-line block ×16, first 2 shown]
	s_wait_loadcnt 0x2
	v_dot2_f32_f16 v11, v117, v207, v11
	v_dot2_f32_f16 v7, v7, v207, v14
	;; [unrolled: 1-line block ×6, first 2 shown]
	s_wait_loadcnt 0x1
	v_dot2_f32_f16 v4, v4, v92, v11
	v_dot2_f32_f16 v7, v125, v92, v7
	v_dot2_f32_f16 v3, v3, v92, v10
	v_dot2_f32_f16 v6, v127, v92, v6
	v_dot2_f32_f16 v2, v2, v92, v9
	s_wait_loadcnt 0x0
	v_dot2_f32_f16 v0, v83, v94, v4
	v_dot2_f32_f16 v8, v123, v207, v8
	v_dot2_f32_f16 v5, v129, v92, v5
	v_dot2_f32_f16 v12, v34, v207, v15
	scratch_store_b32 off, v0, off offset:104 ; 4-byte Folded Spill
	v_dot2_f32_f16 v0, v69, v94, v7
	v_dot2_f32_f16 v1, v65, v92, v8
	;; [unrolled: 1-line block ×3, first 2 shown]
	scratch_store_b32 off, v0, off offset:96 ; 4-byte Folded Spill
	v_dot2_f32_f16 v0, v77, v94, v3
	scratch_store_b32 off, v0, off offset:92 ; 4-byte Folded Spill
	v_dot2_f32_f16 v0, v71, v94, v6
	;; [unrolled: 2-line block ×6, first 2 shown]
	scratch_store_b32 off, v0, off offset:68 ; 4-byte Folded Spill
	scratch_load_b32 v0, off, off offset:56 ; 4-byte Folded Reload
	s_wait_loadcnt 0x0
	ds_load_b128 v[61:64], v0 offset:512
	ds_load_b128 v[57:60], v0 offset:1552
	;; [unrolled: 1-line block ×8, first 2 shown]
	s_clause 0x1
	scratch_load_b32 v0, off, off offset:120 th:TH_LOAD_LU
	scratch_load_b64 v[1:2], off, off offset:496 th:TH_LOAD_LU
	v_dual_mov_b32 v194, v237 :: v_dual_mov_b32 v195, v238
	v_mov_b32_e32 v218, v242
	v_dual_mov_b32 v198, v239 :: v_dual_mov_b32 v199, v240
	v_dual_mov_b32 v170, v229 :: v_dual_mov_b32 v171, v230
	;; [unrolled: 1-line block ×4, first 2 shown]
	s_wait_dscnt 0x7
	v_dual_mov_b32 v6, v61 :: v_dual_mov_b32 v5, v61
	v_dual_mov_b32 v4, v61 :: v_dual_mov_b32 v3, v61
	s_wait_dscnt 0x3
	v_mov_b32_e32 v101, v46
	s_delay_alu instid0(VALU_DEP_3)
	v_mov_b32_dpp v6, v6 dpp8:[0,0,0,0,0,0,0,0]
	v_mov_b32_dpp v5, v5 dpp8:[1,1,1,1,1,1,1,1]
	v_mov_b32_e32 v97, v46
	v_mov_b32_dpp v4, v4 dpp8:[2,2,2,2,2,2,2,2]
	v_mov_b32_dpp v3, v3 dpp8:[3,3,3,3,3,3,3,3]
	v_mov_b32_e32 v17, v61
	v_dual_mov_b32 v19, v61 :: v_dual_mov_b32 v128, v62
	v_dual_mov_b32 v247, v47 :: v_dual_mov_b32 v78, v62
	v_mov_b32_e32 v237, v48
	s_delay_alu instid0(VALU_DEP_4) | instskip(NEXT) | instid1(VALU_DEP_4)
	v_mov_b32_dpp v17, v17 dpp8:[4,4,4,4,4,4,4,4]
	v_mov_b32_dpp v19, v19 dpp8:[5,5,5,5,5,5,5,5]
	;; [unrolled: 1-line block ×3, first 2 shown]
	v_mov_b32_e32 v65, v63
	v_mov_b32_dpp v78, v78 dpp8:[3,3,3,3,3,3,3,3]
	v_dual_mov_b32 v26, v62 :: v_dual_mov_b32 v241, v48
	s_wait_dscnt 0x2
	v_dual_mov_b32 v30, v63 :: v_dual_mov_b32 v117, v41
	v_mov_b32_dpp v65, v65 dpp8:[0,0,0,0,0,0,0,0]
	v_dual_mov_b32 v25, v64 :: v_dual_mov_b32 v80, v62
	v_mov_b32_e32 v249, v47
	v_dual_mov_b32 v79, v62 :: v_dual_mov_b32 v76, v62
	v_mov_b32_e32 v239, v48
	v_mov_b32_e32 v105, v62
	v_mov_b32_dpp v26, v26 dpp8:[6,6,6,6,6,6,6,6]
	v_mov_b32_dpp v62, v62 dpp8:[7,7,7,7,7,7,7,7]
	;; [unrolled: 1-line block ×3, first 2 shown]
	v_dual_mov_b32 v98, v63 :: v_dual_mov_b32 v123, v41
	v_mov_b32_dpp v25, v25 dpp8:[0,0,0,0,0,0,0,0]
	v_dual_mov_b32 v22, v64 :: v_dual_mov_b32 v121, v41
	v_mov_b32_dpp v80, v80 dpp8:[1,1,1,1,1,1,1,1]
	v_mov_b32_dpp v79, v79 dpp8:[2,2,2,2,2,2,2,2]
	;; [unrolled: 1-line block ×4, first 2 shown]
	v_dual_mov_b32 v32, v63 :: v_dual_mov_b32 v243, v48
	v_mov_b32_e32 v31, v63
	v_mov_b32_e32 v29, v63
	;; [unrolled: 1-line block ×3, first 2 shown]
	v_mov_b32_dpp v98, v98 dpp8:[6,6,6,6,6,6,6,6]
	v_mov_b32_dpp v63, v63 dpp8:[7,7,7,7,7,7,7,7]
	;; [unrolled: 1-line block ×5, first 2 shown]
	v_dual_mov_b32 v24, v64 :: v_dual_mov_b32 v233, v41
	v_mov_b32_e32 v23, v64
	v_mov_b32_dpp v29, v29 dpp8:[4,4,4,4,4,4,4,4]
	v_mov_b32_dpp v149, v149 dpp8:[5,5,5,5,5,5,5,5]
	s_delay_alu instid0(VALU_DEP_4)
	v_mov_b32_dpp v24, v24 dpp8:[1,1,1,1,1,1,1,1]
	v_dual_mov_b32 v164, v225 :: v_dual_mov_b32 v95, v50
	v_mov_b32_dpp v23, v23 dpp8:[2,2,2,2,2,2,2,2]
	v_dual_mov_b32 v196, v235 :: v_dual_mov_b32 v189, v52
	v_mov_b32_e32 v165, v226
	v_dual_mov_b32 v197, v236 :: v_dual_mov_b32 v18, v57
	v_dual_mov_b32 v220, v224 :: v_dual_mov_b32 v153, v49
	;; [unrolled: 1-line block ×3, first 2 shown]
	s_delay_alu instid0(VALU_DEP_3)
	v_mov_b32_dpp v18, v18 dpp8:[0,0,0,0,0,0,0,0]
	v_dual_mov_b32 v132, v58 :: v_dual_mov_b32 v231, v58
	v_mov_b32_e32 v232, v58
	v_dual_mov_b32 v126, v58 :: v_dual_mov_b32 v83, v43
	v_mov_b32_e32 v124, v58
	v_mov_b32_e32 v122, v58
	;; [unrolled: 1-line block ×3, first 2 shown]
	v_dual_mov_b32 v168, v227 :: v_dual_mov_b32 v167, v50
	v_mov_b32_e32 v169, v228
	v_mov_b32_dpp v231, v231 dpp8:[1,1,1,1,1,1,1,1]
	v_mov_b32_dpp v232, v232 dpp8:[2,2,2,2,2,2,2,2]
	;; [unrolled: 1-line block ×7, first 2 shown]
	v_mov_b32_e32 v227, v42
	v_mov_b32_dpp v132, v132 dpp8:[0,0,0,0,0,0,0,0]
	v_dual_mov_b32 v135, v59 :: v_dual_mov_b32 v134, v59
	v_dual_mov_b32 v133, v59 :: v_dual_mov_b32 v118, v59
	v_mov_b32_e32 v145, v44
	v_dual_mov_b32 v173, v59 :: v_dual_mov_b32 v174, v59
	v_dual_mov_b32 v175, v59 :: v_dual_mov_b32 v202, v209
	v_mov_b32_e32 v255, v46
	v_mov_b32_e32 v203, v210
	v_mov_b32_dpp v135, v135 dpp8:[0,0,0,0,0,0,0,0]
	v_mov_b32_dpp v133, v133 dpp8:[2,2,2,2,2,2,2,2]
	;; [unrolled: 1-line block ×7, first 2 shown]
	v_mov_b32_e32 v209, v44
	v_mov_b32_dpp v134, v134 dpp8:[1,1,1,1,1,1,1,1]
	v_dual_mov_b32 v141, v60 :: v_dual_mov_b32 v140, v60
	v_mov_b32_e32 v119, v60
	v_dual_mov_b32 v137, v60 :: v_dual_mov_b32 v136, v60
	s_wait_dscnt 0x1
	v_dual_mov_b32 v111, v37 :: v_dual_mov_b32 v116, v60
	v_mov_b32_e32 v113, v37
	v_mov_b32_dpp v141, v141 dpp8:[0,0,0,0,0,0,0,0]
	v_mov_b32_dpp v140, v140 dpp8:[1,1,1,1,1,1,1,1]
	;; [unrolled: 1-line block ×6, first 2 shown]
	v_dual_mov_b32 v99, v53 :: v_dual_mov_b32 v234, v53
	v_dual_mov_b32 v115, v37 :: v_dual_mov_b32 v144, v53
	v_mov_b32_e32 v103, v37
	v_dual_mov_b32 v143, v53 :: v_dual_mov_b32 v142, v53
	v_mov_b32_e32 v114, v53
	v_mov_b32_dpp v99, v99 dpp8:[0,0,0,0,0,0,0,0]
	v_mov_b32_dpp v234, v234 dpp8:[1,1,1,1,1,1,1,1]
	;; [unrolled: 1-line block ×5, first 2 shown]
	v_dual_mov_b32 v172, v54 :: v_dual_mov_b32 v151, v54
	v_dual_mov_b32 v90, v54 :: v_dual_mov_b32 v147, v54
	;; [unrolled: 1-line block ×3, first 2 shown]
	s_delay_alu instid0(VALU_DEP_3) | instskip(NEXT) | instid1(VALU_DEP_4)
	v_mov_b32_dpp v172, v172 dpp8:[0,0,0,0,0,0,0,0]
	v_mov_b32_dpp v151, v151 dpp8:[1,1,1,1,1,1,1,1]
	s_delay_alu instid0(VALU_DEP_4)
	v_mov_b32_dpp v90, v90 dpp8:[2,2,2,2,2,2,2,2]
	v_mov_b32_dpp v147, v147 dpp8:[3,3,3,3,3,3,3,3]
	;; [unrolled: 1-line block ×4, first 2 shown]
	v_dual_mov_b32 v177, v55 :: v_dual_mov_b32 v178, v55
	v_dual_mov_b32 v179, v55 :: v_dual_mov_b32 v180, v55
	;; [unrolled: 1-line block ×3, first 2 shown]
	v_mov_b32_e32 v183, v55
	s_delay_alu instid0(VALU_DEP_4)
	v_mov_b32_dpp v177, v177 dpp8:[0,0,0,0,0,0,0,0]
	v_mov_b32_dpp v178, v178 dpp8:[1,1,1,1,1,1,1,1]
	;; [unrolled: 1-line block ×8, first 2 shown]
	v_mov_b32_e32 v108, v56
	v_mov_b32_e32 v152, v56
	v_dual_mov_b32 v154, v56 :: v_dual_mov_b32 v155, v56
	v_dual_mov_b32 v157, v56 :: v_dual_mov_b32 v158, v56
	v_mov_b32_e32 v176, v56
	v_mov_b32_dpp v108, v108 dpp8:[0,0,0,0,0,0,0,0]
	v_mov_b32_dpp v152, v152 dpp8:[1,1,1,1,1,1,1,1]
	v_mov_b32_dpp v154, v154 dpp8:[2,2,2,2,2,2,2,2]
	v_mov_b32_dpp v155, v155 dpp8:[3,3,3,3,3,3,3,3]
	v_mov_b32_dpp v157, v157 dpp8:[4,4,4,4,4,4,4,4]
	v_mov_b32_dpp v158, v158 dpp8:[5,5,5,5,5,5,5,5]
	v_mov_b32_dpp v176, v176 dpp8:[6,6,6,6,6,6,6,6]
	v_mov_b32_dpp v56, v56 dpp8:[7,7,7,7,7,7,7,7]
	v_dual_mov_b32 v162, v49 :: v_dual_mov_b32 v161, v49
	v_dual_mov_b32 v160, v49 :: v_dual_mov_b32 v159, v49
	v_mov_b32_e32 v110, v49
	v_mov_b32_e32 v106, v49
	s_delay_alu instid0(VALU_DEP_4)
	v_mov_b32_dpp v162, v162 dpp8:[0,0,0,0,0,0,0,0]
	v_mov_b32_dpp v161, v161 dpp8:[1,1,1,1,1,1,1,1]
	;; [unrolled: 1-line block ×8, first 2 shown]
	v_mov_b32_e32 v166, v50
	v_dual_mov_b32 v150, v50 :: v_dual_mov_b32 v163, v50
	v_mov_b32_e32 v104, v50
	v_mov_b32_dpp v95, v95 dpp8:[0,0,0,0,0,0,0,0]
	v_mov_b32_dpp v167, v167 dpp8:[1,1,1,1,1,1,1,1]
	;; [unrolled: 1-line block ×6, first 2 shown]
	v_mov_b32_e32 v96, v51
	v_mov_b32_e32 v184, v51
	;; [unrolled: 1-line block ×3, first 2 shown]
	v_dual_mov_b32 v102, v51 :: v_dual_mov_b32 v191, v52
	s_delay_alu instid0(VALU_DEP_4) | instskip(NEXT) | instid1(VALU_DEP_4)
	v_mov_b32_dpp v96, v96 dpp8:[1,1,1,1,1,1,1,1]
	v_mov_b32_dpp v184, v184 dpp8:[2,2,2,2,2,2,2,2]
	s_delay_alu instid0(VALU_DEP_4) | instskip(NEXT) | instid1(VALU_DEP_4)
	v_mov_b32_dpp v148, v148 dpp8:[3,3,3,3,3,3,3,3]
	v_mov_b32_dpp v102, v102 dpp8:[6,6,6,6,6,6,6,6]
	v_mov_b32_e32 v190, v52
	v_dual_mov_b32 v188, v52 :: v_dual_mov_b32 v187, v52
	v_mov_b32_e32 v100, v52
	v_mov_b32_dpp v191, v191 dpp8:[1,1,1,1,1,1,1,1]
	s_delay_alu instid0(VALU_DEP_4)
	v_mov_b32_dpp v190, v190 dpp8:[2,2,2,2,2,2,2,2]
	v_mov_b32_dpp v189, v189 dpp8:[3,3,3,3,3,3,3,3]
	;; [unrolled: 1-line block ×5, first 2 shown]
	v_dual_mov_b32 v125, v45 :: v_dual_mov_b32 v138, v45
	v_dual_mov_b32 v139, v45 :: v_dual_mov_b32 v146, v45
	v_mov_b32_e32 v109, v45
	s_delay_alu instid0(VALU_DEP_3) | instskip(NEXT) | instid1(VALU_DEP_4)
	v_mov_b32_dpp v125, v125 dpp8:[0,0,0,0,0,0,0,0]
	v_mov_b32_dpp v138, v138 dpp8:[1,1,1,1,1,1,1,1]
	s_delay_alu instid0(VALU_DEP_4)
	v_mov_b32_dpp v139, v139 dpp8:[3,3,3,3,3,3,3,3]
	v_mov_b32_dpp v146, v146 dpp8:[5,5,5,5,5,5,5,5]
	;; [unrolled: 1-line block ×3, first 2 shown]
	v_dual_mov_b32 v251, v46 :: v_dual_mov_b32 v252, v46
	v_dual_mov_b32 v253, v46 :: v_dual_mov_b32 v254, v46
	v_mov_b32_dpp v255, v255 dpp8:[4,4,4,4,4,4,4,4]
	s_delay_alu instid0(VALU_DEP_3) | instskip(NEXT) | instid1(VALU_DEP_4)
	v_mov_b32_dpp v251, v251 dpp8:[0,0,0,0,0,0,0,0]
	v_mov_b32_dpp v252, v252 dpp8:[1,1,1,1,1,1,1,1]
	s_delay_alu instid0(VALU_DEP_4)
	v_mov_b32_dpp v253, v253 dpp8:[2,2,2,2,2,2,2,2]
	v_mov_b32_dpp v254, v254 dpp8:[3,3,3,3,3,3,3,3]
	;; [unrolled: 1-line block ×5, first 2 shown]
	v_mov_b32_e32 v244, v47
	v_mov_b32_e32 v246, v47
	;; [unrolled: 1-line block ×4, first 2 shown]
	v_mov_b32_dpp v247, v247 dpp8:[3,3,3,3,3,3,3,3]
	v_mov_b32_dpp v244, v244 dpp8:[0,0,0,0,0,0,0,0]
	;; [unrolled: 1-line block ×6, first 2 shown]
	v_mov_b32_e32 v238, v48
	v_mov_b32_e32 v240, v48
	;; [unrolled: 1-line block ×3, first 2 shown]
	v_mov_b32_dpp v237, v237 dpp8:[0,0,0,0,0,0,0,0]
	v_mov_b32_dpp v239, v239 dpp8:[2,2,2,2,2,2,2,2]
	;; [unrolled: 1-line block ×8, first 2 shown]
	v_mov_b32_e32 v228, v41
	v_mov_b32_e32 v236, v41
	v_mov_b32_dpp v117, v117 dpp8:[1,1,1,1,1,1,1,1]
	v_mov_b32_dpp v123, v123 dpp8:[2,2,2,2,2,2,2,2]
	;; [unrolled: 1-line block ×7, first 2 shown]
	v_mov_b32_e32 v224, v42
	v_mov_b32_dpp v209, v209 dpp8:[0,0,0,0,0,0,0,0]
	v_mov_b32_dpp v83, v83 dpp8:[1,1,1,1,1,1,1,1]
	v_mov_b32_e32 v210, v44
	v_mov_b32_dpp v111, v111 dpp8:[1,1,1,1,1,1,1,1]
	v_mov_b32_dpp v224, v224 dpp8:[1,1,1,1,1,1,1,1]
	;; [unrolled: 1-line block ×5, first 2 shown]
	v_mov_b32_e32 v226, v42
	v_mov_b32_dpp v227, v227 dpp8:[6,6,6,6,6,6,6,6]
	v_mov_b32_e32 v156, v43
	v_mov_b32_e32 v84, v44
	v_mov_b32_dpp v115, v115 dpp8:[3,3,3,3,3,3,3,3]
	v_mov_b32_dpp v226, v226 dpp8:[3,3,3,3,3,3,3,3]
	v_mov_b32_e32 v208, v37
	v_mov_b32_dpp v156, v156 dpp8:[3,3,3,3,3,3,3,3]
	v_mov_b32_dpp v84, v84 dpp8:[6,6,6,6,6,6,6,6]
	;; [unrolled: 1-line block ×3, first 2 shown]
	scratch_load_b64 v[15:16], off, off offset:488 th:TH_LOAD_LU ; 8-byte Folded Reload
	v_mov_b32_dpp v208, v208 dpp8:[6,6,6,6,6,6,6,6]
	s_clause 0x4
	scratch_load_b64 v[27:28], off, off offset:480 th:TH_LOAD_LU
	scratch_load_b64 v[20:21], off, off offset:472 th:TH_LOAD_LU
	scratch_load_b32 v13, off, off offset:64 th:TH_LOAD_LU
	scratch_load_b32 v14, off, off offset:60 th:TH_LOAD_LU
	scratch_load_b64 v[74:75], off, off offset:16
	v_mov_b32_e32 v235, v41
	v_mov_b32_dpp v41, v41 dpp8:[7,7,7,7,7,7,7,7]
	v_mov_b32_e32 v245, v47
	v_mov_b32_dpp v47, v47 dpp8:[7,7,7,7,7,7,7,7]
	s_wait_loadcnt 0x6
	v_dot2_f32_f16 v7, v6, v1, v0
	scratch_load_b32 v0, off, off offset:116 th:TH_LOAD_LU ; 4-byte Folded Reload
	v_mov_b32_dpp v235, v235 dpp8:[5,5,5,5,5,5,5,5]
	v_mov_b32_dpp v245, v245 dpp8:[1,1,1,1,1,1,1,1]
	v_mov_b32_e32 v127, v42
	v_mov_b32_e32 v225, v42
	;; [unrolled: 1-line block ×4, first 2 shown]
	v_mov_b32_dpp v42, v42 dpp8:[7,7,7,7,7,7,7,7]
	v_mov_b32_dpp v127, v127 dpp8:[4,4,4,4,4,4,4,4]
	;; [unrolled: 1-line block ×5, first 2 shown]
	s_wait_loadcnt 0x6
	v_dot2_f32_f16 v7, v128, v15, v7
	s_wait_loadcnt 0x5
	s_delay_alu instid0(VALU_DEP_1) | instskip(SKIP_1) | instid1(VALU_DEP_1)
	v_dot2_f32_f16 v7, v65, v27, v7
	s_wait_loadcnt 0x4
	v_dot2_f32_f16 v66, v25, v20, v7
	v_mov_b32_e32 v7, v64
	s_wait_loadcnt 0x0
	v_dot2_f32_f16 v8, v5, v1, v0
	scratch_load_b32 v0, off, off offset:112 th:TH_LOAD_LU ; 4-byte Folded Reload
	v_dot2_f32_f16 v66, v18, v74, v66
	v_mov_b32_dpp v7, v7 dpp8:[6,6,6,6,6,6,6,6]
	v_dot2_f32_f16 v8, v80, v15, v8
	s_delay_alu instid0(VALU_DEP_1) | instskip(NEXT) | instid1(VALU_DEP_1)
	v_dot2_f32_f16 v8, v32, v27, v8
	v_dot2_f32_f16 v8, v24, v20, v8
	s_wait_loadcnt 0x0
	v_dot2_f32_f16 v9, v4, v1, v0
	scratch_load_b32 v0, off, off offset:108 th:TH_LOAD_LU ; 4-byte Folded Reload
	v_dot2_f32_f16 v9, v79, v15, v9
	s_delay_alu instid0(VALU_DEP_1) | instskip(NEXT) | instid1(VALU_DEP_1)
	v_dot2_f32_f16 v9, v31, v27, v9
	v_dot2_f32_f16 v9, v23, v20, v9
	s_wait_loadcnt 0x0
	v_dot2_f32_f16 v10, v3, v1, v0
	scratch_load_b32 v0, off, off offset:100 th:TH_LOAD_LU ; 4-byte Folded Reload
	v_dot2_f32_f16 v10, v78, v15, v10
	s_delay_alu instid0(VALU_DEP_1) | instskip(NEXT) | instid1(VALU_DEP_1)
	v_dot2_f32_f16 v10, v30, v27, v10
	v_dot2_f32_f16 v67, v22, v20, v10
	v_mov_b32_e32 v10, v64
	s_delay_alu instid0(VALU_DEP_1) | instskip(SKIP_4) | instid1(VALU_DEP_1)
	v_mov_b32_dpp v10, v10 dpp8:[5,5,5,5,5,5,5,5]
	s_wait_loadcnt 0x0
	v_dot2_f32_f16 v11, v17, v1, v0
	scratch_load_b32 v0, off, off offset:72 th:TH_LOAD_LU ; 4-byte Folded Reload
	v_dot2_f32_f16 v11, v76, v15, v11
	v_dot2_f32_f16 v11, v29, v27, v11
	s_wait_loadcnt 0x0
	v_dot2_f32_f16 v12, v19, v1, v0
	v_mov_b32_e32 v0, v61
	v_mov_b32_dpp v61, v61 dpp8:[7,7,7,7,7,7,7,7]
	s_delay_alu instid0(VALU_DEP_3) | instskip(NEXT) | instid1(VALU_DEP_3)
	v_dot2_f32_f16 v12, v105, v15, v12
	v_mov_b32_dpp v0, v0 dpp8:[6,6,6,6,6,6,6,6]
	s_delay_alu instid0(VALU_DEP_3) | instskip(NEXT) | instid1(VALU_DEP_3)
	v_dot2_f32_f16 v14, v61, v1, v14
	v_dot2_f32_f16 v12, v149, v27, v12
	s_delay_alu instid0(VALU_DEP_3) | instskip(NEXT) | instid1(VALU_DEP_3)
	v_dot2_f32_f16 v13, v0, v1, v13
	v_dot2_f32_f16 v14, v62, v15, v14
	v_mov_b32_e32 v1, v37
	v_mov_b32_dpp v37, v37 dpp8:[7,7,7,7,7,7,7,7]
	v_dot2_f32_f16 v69, v10, v20, v12
	v_dot2_f32_f16 v13, v26, v15, v13
	;; [unrolled: 1-line block ×3, first 2 shown]
	v_mov_b32_e32 v15, v64
	v_mov_b32_dpp v64, v64 dpp8:[7,7,7,7,7,7,7,7]
	v_mov_b32_e32 v12, v57
	v_dot2_f32_f16 v13, v98, v27, v13
	v_mov_b32_e32 v27, v54
	v_mov_b32_dpp v15, v15 dpp8:[4,4,4,4,4,4,4,4]
	v_dot2_f32_f16 v71, v64, v20, v14
	v_mov_b32_e32 v14, v57
	v_dot2_f32_f16 v70, v7, v20, v13
	v_mov_b32_e32 v13, v57
	;; [unrolled: 2-line block ×3, first 2 shown]
	v_mov_b32_dpp v14, v14 dpp8:[1,1,1,1,1,1,1,1]
	v_mov_b32_dpp v12, v12 dpp8:[3,3,3,3,3,3,3,3]
	;; [unrolled: 1-line block ×3, first 2 shown]
	v_mov_b32_e32 v20, v53
	v_mov_b32_dpp v11, v11 dpp8:[4,4,4,4,4,4,4,4]
	v_dot2_f32_f16 v72, v14, v74, v8
	v_mov_b32_e32 v8, v57
	v_dot2_f32_f16 v73, v13, v74, v9
	v_mov_b32_e32 v9, v57
	v_mov_b32_dpp v57, v57 dpp8:[7,7,7,7,7,7,7,7]
	v_dot2_f32_f16 v67, v12, v74, v67
	v_mov_b32_dpp v8, v8 dpp8:[6,6,6,6,6,6,6,6]
	v_dot2_f32_f16 v68, v11, v74, v68
	v_mov_b32_dpp v9, v9 dpp8:[5,5,5,5,5,5,5,5]
	v_dot2_f32_f16 v71, v57, v74, v71
	v_mov_b32_dpp v20, v20 dpp8:[2,2,2,2,2,2,2,2]
	v_dot2_f32_f16 v70, v8, v74, v70
	v_mov_b32_dpp v53, v53 dpp8:[7,7,7,7,7,7,7,7]
	v_dot2_f32_f16 v69, v9, v74, v69
	scratch_load_b64 v[74:75], off, off offset:8 ; 8-byte Folded Reload
	v_mov_b32_dpp v27, v27 dpp8:[5,5,5,5,5,5,5,5]
	v_mov_b32_dpp v54, v54 dpp8:[7,7,7,7,7,7,7,7]
	;; [unrolled: 1-line block ×3, first 2 shown]
	s_wait_loadcnt 0x0
	v_dot2_f32_f16 v66, v132, v74, v66
	v_dot2_f32_f16 v72, v231, v74, v72
	;; [unrolled: 1-line block ×8, first 2 shown]
	scratch_load_b64 v[74:75], off, off     ; 8-byte Folded Reload
	s_wait_loadcnt 0x0
	v_mov_b32_e32 v75, v38
	v_mov_b32_dpp v142, v142 dpp8:[5,5,5,5,5,5,5,5]
	s_delay_alu instid0(VALU_DEP_2)
	v_mov_b32_dpp v75, v75 dpp8:[0,0,0,0,0,0,0,0]
	scratch_store_b32 off, v75, off offset:452 ; 4-byte Folded Spill
	v_dot2_f32_f16 v66, v135, v74, v66
	v_dot2_f32_f16 v72, v134, v74, v72
	;; [unrolled: 1-line block ×8, first 2 shown]
	v_mov_b32_e32 v74, v60
	v_mov_b32_dpp v60, v60 dpp8:[7,7,7,7,7,7,7,7]
	v_dot2_f32_f16 v66, v141, v221, v66
	v_dot2_f32_f16 v72, v140, v221, v72
	;; [unrolled: 1-line block ×3, first 2 shown]
	v_mov_b32_dpp v74, v74 dpp8:[3,3,3,3,3,3,3,3]
	v_dot2_f32_f16 v68, v137, v221, v68
	v_dot2_f32_f16 v69, v136, v221, v69
	;; [unrolled: 1-line block ×37, first 2 shown]
	v_mov_b32_e32 v164, v50
	v_dot2_f32_f16 v66, v162, v185, v66
	v_dot2_f32_f16 v72, v161, v185, v72
	;; [unrolled: 1-line block ×8, first 2 shown]
	v_mov_b32_dpp v164, v164 dpp8:[4,4,4,4,4,4,4,4]
	v_mov_b32_dpp v50, v50 dpp8:[7,7,7,7,7,7,7,7]
	v_dual_mov_b32 v185, v51 :: v_dual_mov_b32 v170, v51
	v_mov_b32_e32 v168, v51
	v_dot2_f32_f16 v66, v95, v192, v66
	v_dot2_f32_f16 v72, v167, v192, v72
	v_dot2_f32_f16 v73, v166, v192, v73
	v_dot2_f32_f16 v67, v150, v192, v67
	v_dot2_f32_f16 v68, v164, v192, v68
	v_dot2_f32_f16 v69, v163, v192, v69
	v_dot2_f32_f16 v70, v104, v192, v70
	v_dot2_f32_f16 v71, v50, v192, v71
	v_mov_b32_dpp v185, v185 dpp8:[0,0,0,0,0,0,0,0]
	v_mov_b32_dpp v170, v170 dpp8:[4,4,4,4,4,4,4,4]
	;; [unrolled: 1-line block ×4, first 2 shown]
	v_mov_b32_e32 v192, v52
	v_dot2_f32_f16 v66, v185, v196, v66
	v_dot2_f32_f16 v72, v96, v196, v72
	;; [unrolled: 1-line block ×8, first 2 shown]
	v_mov_b32_dpp v192, v192 dpp8:[0,0,0,0,0,0,0,0]
	v_mov_b32_dpp v52, v52 dpp8:[7,7,7,7,7,7,7,7]
	v_dot2_f32_f16 v72, v191, v194, v72
	v_dot2_f32_f16 v73, v190, v194, v73
	;; [unrolled: 1-line block ×8, first 2 shown]
	v_mov_b32_e32 v196, v45
	v_mov_b32_e32 v194, v45
	v_mov_b32_dpp v45, v45 dpp8:[7,7,7,7,7,7,7,7]
	v_dot2_f32_f16 v66, v125, v198, v66
	v_dot2_f32_f16 v72, v138, v198, v72
	v_mov_b32_dpp v196, v196 dpp8:[2,2,2,2,2,2,2,2]
	v_mov_b32_dpp v194, v194 dpp8:[4,4,4,4,4,4,4,4]
	v_dot2_f32_f16 v67, v139, v198, v67
	v_dot2_f32_f16 v69, v146, v198, v69
	;; [unrolled: 1-line block ×38, first 2 shown]
	v_mov_b32_e32 v215, v43
	v_dot2_f32_f16 v66, v223, v213, v66
	v_dot2_f32_f16 v72, v224, v213, v72
	v_mov_b32_e32 v217, v43
	v_dot2_f32_f16 v73, v225, v213, v73
	v_mov_b32_dpp v215, v215 dpp8:[0,0,0,0,0,0,0,0]
	v_mov_b32_e32 v219, v43
	v_dot2_f32_f16 v72, v83, v204, v72
	v_mov_b32_dpp v217, v217 dpp8:[2,2,2,2,2,2,2,2]
	v_mov_b32_e32 v221, v43
	v_dot2_f32_f16 v66, v215, v204, v66
	v_mov_b32_e32 v88, v43
	v_dot2_f32_f16 v72, v210, v202, v72
	v_dot2_f32_f16 v73, v217, v204, v73
	;; [unrolled: 1-line block ×12, first 2 shown]
	v_mov_b32_dpp v219, v219 dpp8:[4,4,4,4,4,4,4,4]
	v_dot2_f32_f16 v66, v75, v81, v66
	v_mov_b32_e32 v75, v38
	v_mov_b32_dpp v221, v221 dpp8:[5,5,5,5,5,5,5,5]
	v_mov_b32_dpp v88, v88 dpp8:[6,6,6,6,6,6,6,6]
	;; [unrolled: 1-line block ×3, first 2 shown]
	v_dot2_f32_f16 v67, v156, v204, v67
	v_mov_b32_dpp v75, v75 dpp8:[1,1,1,1,1,1,1,1]
	v_dot2_f32_f16 v68, v219, v204, v68
	v_dot2_f32_f16 v69, v221, v204, v69
	;; [unrolled: 1-line block ×4, first 2 shown]
	scratch_store_b32 off, v75, off offset:456 ; 4-byte Folded Spill
	v_dot2_f32_f16 v72, v75, v81, v72
	v_dual_mov_b32 v75, v38 :: v_dual_mov_b32 v204, v44
	v_mov_b32_e32 v213, v44
	v_mov_b32_e32 v229, v44
	v_mov_b32_dpp v44, v44 dpp8:[7,7,7,7,7,7,7,7]
	s_delay_alu instid0(VALU_DEP_4)
	v_mov_b32_dpp v75, v75 dpp8:[2,2,2,2,2,2,2,2]
	v_mov_b32_dpp v204, v204 dpp8:[3,3,3,3,3,3,3,3]
	;; [unrolled: 1-line block ×4, first 2 shown]
	v_dot2_f32_f16 v70, v84, v202, v70
	scratch_store_b32 off, v75, off offset:460 ; 4-byte Folded Spill
	v_dot2_f32_f16 v73, v75, v81, v73
	v_mov_b32_e32 v75, v39
	v_dot2_f32_f16 v67, v204, v202, v67
	v_dot2_f32_f16 v68, v213, v202, v68
	;; [unrolled: 1-line block ×4, first 2 shown]
	v_mov_b32_dpp v75, v75 dpp8:[0,0,0,0,0,0,0,0]
	scratch_store_b32 off, v1, off offset:468 ; 4-byte Folded Spill
	v_mov_b32_e32 v1, v38
	v_dot2_f32_f16 v67, v115, v200, v67
	v_mov_b32_e32 v202, v38
	scratch_store_b32 off, v75, off offset:428 ; 4-byte Folded Spill
	v_dot2_f32_f16 v66, v75, v130, v66
	v_mov_b32_e32 v75, v39
	v_mov_b32_dpp v1, v1 dpp8:[3,3,3,3,3,3,3,3]
	v_dot2_f32_f16 v68, v107, v200, v68
	v_mov_b32_dpp v202, v202 dpp8:[4,4,4,4,4,4,4,4]
	v_dot2_f32_f16 v69, v103, v200, v69
	;; [unrolled: 2-line block ×3, first 2 shown]
	v_dot2_f32_f16 v70, v208, v200, v70
	v_dot2_f32_f16 v71, v37, v200, v71
	;; [unrolled: 1-line block ×3, first 2 shown]
	scratch_store_b32 off, v75, off offset:432 ; 4-byte Folded Spill
	v_dot2_f32_f16 v72, v75, v130, v72
	v_dual_mov_b32 v75, v39 :: v_dual_mov_b32 v200, v38
	v_mov_b32_e32 v198, v38
	v_mov_b32_dpp v38, v38 dpp8:[7,7,7,7,7,7,7,7]
	s_delay_alu instid0(VALU_DEP_3) | instskip(NEXT) | instid1(VALU_DEP_4)
	v_mov_b32_dpp v75, v75 dpp8:[2,2,2,2,2,2,2,2]
	v_mov_b32_dpp v200, v200 dpp8:[5,5,5,5,5,5,5,5]
	s_delay_alu instid0(VALU_DEP_4) | instskip(NEXT) | instid1(VALU_DEP_4)
	v_mov_b32_dpp v198, v198 dpp8:[6,6,6,6,6,6,6,6]
	v_dot2_f32_f16 v71, v38, v81, v71
	scratch_store_b32 off, v75, off offset:436 ; 4-byte Folded Spill
	v_dot2_f32_f16 v73, v75, v130, v73
	v_mov_b32_e32 v75, v39
	v_dot2_f32_f16 v69, v200, v81, v69
	v_dot2_f32_f16 v70, v198, v81, v70
	v_mov_b32_e32 v81, v39
	s_delay_alu instid0(VALU_DEP_4) | instskip(NEXT) | instid1(VALU_DEP_2)
	v_mov_b32_dpp v75, v75 dpp8:[3,3,3,3,3,3,3,3]
	v_mov_b32_dpp v81, v81 dpp8:[6,6,6,6,6,6,6,6]
	scratch_store_b32 off, v75, off offset:440 ; 4-byte Folded Spill
	v_dot2_f32_f16 v67, v75, v130, v67
	v_mov_b32_e32 v75, v39
	v_dot2_f32_f16 v70, v81, v130, v70
	s_delay_alu instid0(VALU_DEP_2) | instskip(SKIP_4) | instid1(VALU_DEP_2)
	v_mov_b32_dpp v75, v75 dpp8:[4,4,4,4,4,4,4,4]
	scratch_store_b32 off, v75, off offset:444 ; 4-byte Folded Spill
	v_dot2_f32_f16 v68, v75, v130, v68
	v_mov_b32_e32 v75, v39
	v_mov_b32_dpp v39, v39 dpp8:[7,7,7,7,7,7,7,7]
	v_mov_b32_dpp v75, v75 dpp8:[5,5,5,5,5,5,5,5]
	s_delay_alu instid0(VALU_DEP_2) | instskip(SKIP_3) | instid1(VALU_DEP_1)
	v_dot2_f32_f16 v71, v39, v130, v71
	scratch_store_b32 off, v75, off offset:448 ; 4-byte Folded Spill
	v_dot2_f32_f16 v69, v75, v130, v69
	v_dual_mov_b32 v75, v40 :: v_dual_mov_b32 v130, v40
	v_mov_b32_dpp v75, v75 dpp8:[0,0,0,0,0,0,0,0]
	s_delay_alu instid0(VALU_DEP_2) | instskip(SKIP_4) | instid1(VALU_DEP_2)
	v_mov_b32_dpp v130, v130 dpp8:[6,6,6,6,6,6,6,6]
	scratch_store_b32 off, v75, off offset:404 ; 4-byte Folded Spill
	v_dot2_f32_f16 v66, v75, v85, v66
	v_mov_b32_e32 v75, v40
	v_dot2_f32_f16 v70, v130, v85, v70
	v_mov_b32_dpp v75, v75 dpp8:[1,1,1,1,1,1,1,1]
	scratch_store_b32 off, v75, off offset:408 ; 4-byte Folded Spill
	v_dot2_f32_f16 v72, v75, v85, v72
	v_mov_b32_e32 v75, v40
	s_delay_alu instid0(VALU_DEP_1) | instskip(SKIP_3) | instid1(VALU_DEP_1)
	v_mov_b32_dpp v75, v75 dpp8:[2,2,2,2,2,2,2,2]
	scratch_store_b32 off, v75, off offset:412 ; 4-byte Folded Spill
	v_dot2_f32_f16 v73, v75, v85, v73
	v_mov_b32_e32 v75, v40
	v_mov_b32_dpp v75, v75 dpp8:[3,3,3,3,3,3,3,3]
	scratch_store_b32 off, v75, off offset:416 ; 4-byte Folded Spill
	v_dot2_f32_f16 v67, v75, v85, v67
	v_mov_b32_e32 v75, v40
	s_delay_alu instid0(VALU_DEP_1) | instskip(SKIP_4) | instid1(VALU_DEP_2)
	v_mov_b32_dpp v75, v75 dpp8:[4,4,4,4,4,4,4,4]
	scratch_store_b32 off, v75, off offset:420 ; 4-byte Folded Spill
	v_dot2_f32_f16 v68, v75, v85, v68
	v_mov_b32_e32 v75, v40
	v_mov_b32_dpp v40, v40 dpp8:[7,7,7,7,7,7,7,7]
	v_mov_b32_dpp v75, v75 dpp8:[5,5,5,5,5,5,5,5]
	s_delay_alu instid0(VALU_DEP_2)
	v_dot2_f32_f16 v71, v40, v85, v71
	scratch_store_b32 off, v75, off offset:424 ; 4-byte Folded Spill
	v_dot2_f32_f16 v69, v75, v85, v69
	s_wait_dscnt 0x0
	v_mov_b32_e32 v75, v33
	v_mov_b32_e32 v85, v33
	s_delay_alu instid0(VALU_DEP_2) | instskip(NEXT) | instid1(VALU_DEP_2)
	v_mov_b32_dpp v75, v75 dpp8:[0,0,0,0,0,0,0,0]
	v_mov_b32_dpp v85, v85 dpp8:[6,6,6,6,6,6,6,6]
	scratch_store_b32 off, v75, off offset:380 ; 4-byte Folded Spill
	v_dot2_f32_f16 v66, v75, v211, v66
	v_mov_b32_e32 v75, v33
	v_dot2_f32_f16 v70, v85, v211, v70
	s_delay_alu instid0(VALU_DEP_2) | instskip(SKIP_3) | instid1(VALU_DEP_1)
	v_mov_b32_dpp v75, v75 dpp8:[1,1,1,1,1,1,1,1]
	scratch_store_b32 off, v75, off offset:384 ; 4-byte Folded Spill
	v_dot2_f32_f16 v72, v75, v211, v72
	v_mov_b32_e32 v75, v33
	v_mov_b32_dpp v75, v75 dpp8:[2,2,2,2,2,2,2,2]
	scratch_store_b32 off, v75, off offset:388 ; 4-byte Folded Spill
	v_dot2_f32_f16 v73, v75, v211, v73
	v_mov_b32_e32 v75, v33
	s_delay_alu instid0(VALU_DEP_1) | instskip(SKIP_3) | instid1(VALU_DEP_1)
	v_mov_b32_dpp v75, v75 dpp8:[3,3,3,3,3,3,3,3]
	scratch_store_b32 off, v75, off offset:392 ; 4-byte Folded Spill
	v_dot2_f32_f16 v67, v75, v211, v67
	v_mov_b32_e32 v75, v33
	v_mov_b32_dpp v75, v75 dpp8:[4,4,4,4,4,4,4,4]
	scratch_store_b32 off, v75, off offset:396 ; 4-byte Folded Spill
	v_dot2_f32_f16 v68, v75, v211, v68
	v_mov_b32_e32 v75, v33
	v_mov_b32_dpp v33, v33 dpp8:[7,7,7,7,7,7,7,7]
	s_delay_alu instid0(VALU_DEP_2) | instskip(NEXT) | instid1(VALU_DEP_2)
	v_mov_b32_dpp v75, v75 dpp8:[5,5,5,5,5,5,5,5]
	v_dot2_f32_f16 v71, v33, v211, v71
	scratch_store_b32 off, v75, off offset:400 ; 4-byte Folded Spill
	v_dot2_f32_f16 v69, v75, v211, v69
	v_mov_b32_e32 v75, v34
	v_mov_b32_e32 v211, v36
	s_delay_alu instid0(VALU_DEP_2) | instskip(NEXT) | instid1(VALU_DEP_2)
	v_mov_b32_dpp v75, v75 dpp8:[0,0,0,0,0,0,0,0]
	v_mov_b32_dpp v211, v211 dpp8:[4,4,4,4,4,4,4,4]
	scratch_store_b32 off, v75, off offset:328 ; 4-byte Folded Spill
	v_dot2_f32_f16 v66, v75, v206, v66
	v_mov_b32_e32 v75, v34
	s_delay_alu instid0(VALU_DEP_1) | instskip(SKIP_3) | instid1(VALU_DEP_1)
	v_mov_b32_dpp v75, v75 dpp8:[1,1,1,1,1,1,1,1]
	scratch_store_b32 off, v75, off offset:332 ; 4-byte Folded Spill
	v_dot2_f32_f16 v75, v75, v206, v72
	v_mov_b32_e32 v72, v34
	v_mov_b32_dpp v72, v72 dpp8:[2,2,2,2,2,2,2,2]
	scratch_store_b32 off, v72, off offset:336 ; 4-byte Folded Spill
	v_dot2_f32_f16 v73, v72, v206, v73
	v_mov_b32_e32 v72, v34
	s_delay_alu instid0(VALU_DEP_1) | instskip(SKIP_3) | instid1(VALU_DEP_1)
	v_mov_b32_dpp v72, v72 dpp8:[3,3,3,3,3,3,3,3]
	scratch_store_b32 off, v72, off offset:340 ; 4-byte Folded Spill
	v_dot2_f32_f16 v67, v72, v206, v67
	v_mov_b32_e32 v72, v34
	v_mov_b32_dpp v72, v72 dpp8:[4,4,4,4,4,4,4,4]
	scratch_store_b32 off, v72, off offset:344 ; 4-byte Folded Spill
	v_dot2_f32_f16 v68, v72, v206, v68
	v_mov_b32_e32 v72, v34
	s_delay_alu instid0(VALU_DEP_1) | instskip(SKIP_4) | instid1(VALU_DEP_2)
	v_mov_b32_dpp v72, v72 dpp8:[5,5,5,5,5,5,5,5]
	scratch_store_b32 off, v72, off offset:348 ; 4-byte Folded Spill
	v_dot2_f32_f16 v69, v72, v206, v69
	v_mov_b32_e32 v72, v34
	v_mov_b32_dpp v34, v34 dpp8:[7,7,7,7,7,7,7,7]
	v_mov_b32_dpp v72, v72 dpp8:[6,6,6,6,6,6,6,6]
	s_delay_alu instid0(VALU_DEP_2) | instskip(NEXT) | instid1(VALU_DEP_2)
	v_dot2_f32_f16 v71, v34, v206, v71
	v_dot2_f32_f16 v77, v72, v206, v70
	v_mov_b32_e32 v70, v35
	v_mov_b32_e32 v206, v36
	s_delay_alu instid0(VALU_DEP_2) | instskip(NEXT) | instid1(VALU_DEP_2)
	v_mov_b32_dpp v70, v70 dpp8:[0,0,0,0,0,0,0,0]
	v_mov_b32_dpp v206, v206 dpp8:[1,1,1,1,1,1,1,1]
	scratch_store_b32 off, v70, off offset:304 ; 4-byte Folded Spill
	v_dot2_f32_f16 v66, v70, v91, v66
	v_mov_b32_e32 v70, v35
	s_delay_alu instid0(VALU_DEP_1) | instskip(SKIP_3) | instid1(VALU_DEP_1)
	v_mov_b32_dpp v70, v70 dpp8:[1,1,1,1,1,1,1,1]
	scratch_store_b32 off, v70, off offset:308 ; 4-byte Folded Spill
	v_dot2_f32_f16 v75, v70, v91, v75
	v_mov_b32_e32 v70, v35
	v_mov_b32_dpp v70, v70 dpp8:[2,2,2,2,2,2,2,2]
	scratch_store_b32 off, v70, off offset:312 ; 4-byte Folded Spill
	v_dot2_f32_f16 v73, v70, v91, v73
	v_mov_b32_e32 v70, v35
	s_delay_alu instid0(VALU_DEP_1) | instskip(SKIP_3) | instid1(VALU_DEP_1)
	v_mov_b32_dpp v70, v70 dpp8:[3,3,3,3,3,3,3,3]
	scratch_store_b32 off, v70, off offset:316 ; 4-byte Folded Spill
	v_dot2_f32_f16 v67, v70, v91, v67
	v_mov_b32_e32 v70, v35
	v_mov_b32_dpp v70, v70 dpp8:[4,4,4,4,4,4,4,4]
	scratch_store_b32 off, v70, off offset:320 ; 4-byte Folded Spill
	v_dot2_f32_f16 v68, v70, v91, v68
	v_mov_b32_e32 v70, v35
	s_delay_alu instid0(VALU_DEP_1) | instskip(SKIP_4) | instid1(VALU_DEP_2)
	v_mov_b32_dpp v70, v70 dpp8:[5,5,5,5,5,5,5,5]
	scratch_store_b32 off, v70, off offset:324 ; 4-byte Folded Spill
	v_dot2_f32_f16 v69, v70, v91, v69
	v_mov_b32_e32 v70, v35
	v_mov_b32_dpp v35, v35 dpp8:[7,7,7,7,7,7,7,7]
	v_mov_b32_dpp v70, v70 dpp8:[6,6,6,6,6,6,6,6]
	s_delay_alu instid0(VALU_DEP_2) | instskip(NEXT) | instid1(VALU_DEP_2)
	v_dot2_f32_f16 v71, v35, v91, v71
	v_dot2_f32_f16 v77, v70, v91, v77
	v_mov_b32_e32 v91, v36
	s_delay_alu instid0(VALU_DEP_1) | instskip(NEXT) | instid1(VALU_DEP_1)
	v_mov_b32_dpp v91, v91 dpp8:[0,0,0,0,0,0,0,0]
	v_dot2_f32_f16 v66, v91, v93, v66
	scratch_store_b32 off, v66, off offset:120 ; 4-byte Folded Spill
	v_dot2_f32_f16 v66, v206, v93, v75
	v_mov_b32_e32 v75, v36
	scratch_store_b32 off, v66, off offset:116 ; 4-byte Folded Spill
	v_mov_b32_dpp v75, v75 dpp8:[2,2,2,2,2,2,2,2]
	s_delay_alu instid0(VALU_DEP_1) | instskip(SKIP_3) | instid1(VALU_DEP_1)
	v_dot2_f32_f16 v66, v75, v93, v73
	v_mov_b32_e32 v73, v36
	scratch_store_b32 off, v66, off offset:112 ; 4-byte Folded Spill
	v_mov_b32_dpp v73, v73 dpp8:[3,3,3,3,3,3,3,3]
	v_dot2_f32_f16 v66, v73, v93, v67
	v_mov_b32_e32 v67, v36
	scratch_store_b32 off, v66, off offset:108 ; 4-byte Folded Spill
	v_dot2_f32_f16 v66, v211, v93, v68
	v_mov_b32_dpp v67, v67 dpp8:[5,5,5,5,5,5,5,5]
	v_mov_b32_e32 v68, v36
	v_mov_b32_dpp v36, v36 dpp8:[7,7,7,7,7,7,7,7]
	scratch_store_b32 off, v66, off offset:100 ; 4-byte Folded Spill
	v_dot2_f32_f16 v66, v67, v93, v69
	v_mov_b32_dpp v68, v68 dpp8:[6,6,6,6,6,6,6,6]
	v_mov_b32_e32 v69, v67
	v_mov_b32_e32 v67, v2
	scratch_load_b32 v2, off, off offset:356 th:TH_LOAD_LU ; 4-byte Folded Reload
	scratch_store_b32 off, v66, off offset:72 ; 4-byte Folded Spill
	v_dot2_f32_f16 v66, v68, v93, v77
	scratch_store_b32 off, v66, off offset:64 ; 4-byte Folded Spill
	v_dot2_f32_f16 v66, v36, v93, v71
	scratch_store_b32 off, v1, off offset:464 ; 4-byte Folded Spill
	scratch_load_b32 v1, off, off offset:352 th:TH_LOAD_LU ; 4-byte Folded Reload
	scratch_store_b32 off, v66, off offset:60 ; 4-byte Folded Spill
	scratch_load_b32 v66, off, off offset:376 th:TH_LOAD_LU ; 4-byte Folded Reload
	s_wait_loadcnt 0x1
	v_dot2_f32_f16 v71, v0, v67, v1
	scratch_load_b32 v0, off, off offset:300 th:TH_LOAD_LU ; 4-byte Folded Reload
	v_mov_b32_e32 v1, v67
	v_dot2_f32_f16 v19, v19, v67, v2
	s_wait_loadcnt 0x1
	v_dot2_f32_f16 v66, v6, v67, v66
	scratch_load_b32 v6, off, off offset:372 th:TH_LOAD_LU ; 4-byte Folded Reload
	v_dot2_f32_f16 v26, v26, v16, v71
	s_wait_loadcnt 0x1
	v_dot2_f32_f16 v0, v61, v1, v0
	v_dot2_f32_f16 v1, v128, v16, v66
	s_wait_loadcnt 0x0
	v_dot2_f32_f16 v6, v5, v67, v6
	scratch_load_b32 v5, off, off offset:368 th:TH_LOAD_LU ; 4-byte Folded Reload
	v_dot2_f32_f16 v0, v62, v16, v0
	v_dot2_f32_f16 v1, v65, v28, v1
	;; [unrolled: 1-line block ×11, first 2 shown]
	s_delay_alu instid0(VALU_DEP_4) | instskip(NEXT) | instid1(VALU_DEP_4)
	v_dot2_f32_f16 v2, v24, v21, v2
	v_dot2_f32_f16 v6, v10, v21, v6
	s_wait_loadcnt 0x0
	v_dot2_f32_f16 v5, v4, v67, v5
	scratch_load_b32 v4, off, off offset:364 th:TH_LOAD_LU ; 4-byte Folded Reload
	s_wait_loadcnt 0x0
	v_dot2_f32_f16 v4, v3, v67, v4
	scratch_load_b32 v3, off, off offset:360 th:TH_LOAD_LU ; 4-byte Folded Reload
	v_dot2_f32_f16 v4, v78, v16, v4
	s_delay_alu instid0(VALU_DEP_1) | instskip(NEXT) | instid1(VALU_DEP_1)
	v_dot2_f32_f16 v4, v30, v28, v4
	v_dot2_f32_f16 v4, v22, v21, v4
	s_wait_loadcnt 0x0
	v_dot2_f32_f16 v17, v17, v67, v3
	v_dot2_f32_f16 v3, v79, v16, v5
	s_delay_alu instid0(VALU_DEP_2) | instskip(NEXT) | instid1(VALU_DEP_2)
	v_dot2_f32_f16 v5, v76, v16, v17
	v_dot2_f32_f16 v3, v31, v28, v3
	s_delay_alu instid0(VALU_DEP_2) | instskip(NEXT) | instid1(VALU_DEP_2)
	v_dot2_f32_f16 v5, v29, v28, v5
	v_dot2_f32_f16 v3, v23, v21, v3
	s_delay_alu instid0(VALU_DEP_2) | instskip(SKIP_3) | instid1(VALU_DEP_1)
	v_dot2_f32_f16 v5, v15, v21, v5
	scratch_load_b64 v[15:16], off, off offset:16 th:TH_LOAD_LU ; 8-byte Folded Reload
	s_wait_loadcnt 0x0
	v_mov_b32_e32 v10, v16
	v_dot2_f32_f16 v6, v9, v10, v6
	v_dot2_f32_f16 v7, v8, v10, v7
	scratch_load_b64 v[8:9], off, off offset:8 th:TH_LOAD_LU ; 8-byte Folded Reload
	v_dot2_f32_f16 v1, v18, v10, v1
	v_dot2_f32_f16 v2, v14, v10, v2
	;; [unrolled: 1-line block ×6, first 2 shown]
	s_wait_loadcnt 0x0
	v_mov_b32_e32 v8, v9
	s_delay_alu instid0(VALU_DEP_1)
	v_dot2_f32_f16 v1, v132, v8, v1
	v_dot2_f32_f16 v2, v231, v8, v2
	;; [unrolled: 1-line block ×8, first 2 shown]
	s_clause 0x3
	scratch_load_b64 v[8:9], off, off th:TH_LOAD_LU
	scratch_load_b32 v122, off, off offset:296
	scratch_load_b32 v124, off, off offset:288
	;; [unrolled: 1-line block ×3, first 2 shown]
	s_wait_loadcnt 0x3
	v_mov_b32_e32 v8, v9
	s_delay_alu instid0(VALU_DEP_1)
	v_dot2_f32_f16 v1, v135, v8, v1
	v_dot2_f32_f16 v2, v134, v8, v2
	;; [unrolled: 1-line block ×8, first 2 shown]
	scratch_load_b32 v8, off, off offset:468 th:TH_LOAD_LU ; 4-byte Folded Reload
	v_dot2_f32_f16 v1, v141, v222, v1
	v_dot2_f32_f16 v2, v140, v222, v2
	;; [unrolled: 1-line block ×48, first 2 shown]
	scratch_load_b32 v49, off, off offset:144 th:TH_LOAD_LU ; 4-byte Folded Reload
	v_dot2_f32_f16 v1, v95, v193, v1
	v_dot2_f32_f16 v2, v167, v193, v2
	v_dot2_f32_f16 v3, v166, v193, v3
	v_dot2_f32_f16 v4, v150, v193, v4
	v_dot2_f32_f16 v5, v164, v193, v5
	v_dot2_f32_f16 v6, v163, v193, v6
	v_dot2_f32_f16 v0, v50, v193, v0
	v_dot2_f32_f16 v7, v104, v193, v7
	scratch_load_b32 v50, off, off offset:148 th:TH_LOAD_LU ; 4-byte Folded Reload
	v_dot2_f32_f16 v1, v185, v197, v1
	v_dot2_f32_f16 v2, v96, v197, v2
	v_dot2_f32_f16 v3, v184, v197, v3
	v_dot2_f32_f16 v4, v148, v197, v4
	v_dot2_f32_f16 v5, v170, v197, v5
	v_dot2_f32_f16 v6, v168, v197, v6
	v_dot2_f32_f16 v0, v51, v197, v0
	v_dot2_f32_f16 v7, v102, v197, v7
	;; [unrolled: 9-line block ×3, first 2 shown]
	v_dot2_f32_f16 v1, v125, v199, v1
	v_dot2_f32_f16 v2, v138, v199, v2
	;; [unrolled: 1-line block ×71, first 2 shown]
	s_delay_alu instid0(VALU_DEP_4) | instskip(NEXT) | instid1(VALU_DEP_4)
	v_dot2_f32_f16 v5, v202, v82, v5
	v_dot2_f32_f16 v6, v200, v82, v6
	s_delay_alu instid0(VALU_DEP_4) | instskip(NEXT) | instid1(VALU_DEP_4)
	v_dot2_f32_f16 v0, v38, v82, v0
	v_dot2_f32_f16 v7, v198, v82, v7
	s_delay_alu instid0(VALU_DEP_2) | instskip(NEXT) | instid1(VALU_DEP_2)
	v_dot2_f32_f16 v0, v39, v131, v0
	v_dot2_f32_f16 v7, v81, v131, v7
	s_delay_alu instid0(VALU_DEP_2) | instskip(NEXT) | instid1(VALU_DEP_2)
	;; [unrolled: 3-line block ×6, first 2 shown]
	v_dot2_f32_f16 v237, v36, v94, v0
	v_dot2_f32_f16 v238, v68, v94, v7
	s_wait_loadcnt 0x3
	v_dot2_f32_f16 v1, v8, v201, v1
	scratch_load_b32 v8, off, off offset:452 th:TH_LOAD_LU ; 4-byte Folded Reload
	s_wait_loadcnt 0x0
	v_dot2_f32_f16 v1, v8, v82, v1
	scratch_load_b32 v8, off, off offset:456 th:TH_LOAD_LU ; 4-byte Folded Reload
	s_wait_loadcnt 0x0
	v_dot2_f32_f16 v2, v8, v82, v2
	scratch_load_b32 v8, off, off offset:460 th:TH_LOAD_LU ; 4-byte Folded Reload
	s_wait_loadcnt 0x0
	v_dot2_f32_f16 v3, v8, v82, v3
	scratch_load_b32 v8, off, off offset:464 th:TH_LOAD_LU ; 4-byte Folded Reload
	s_wait_loadcnt 0x0
	v_dot2_f32_f16 v4, v8, v82, v4
	scratch_load_b32 v8, off, off offset:428 th:TH_LOAD_LU ; 4-byte Folded Reload
	s_wait_loadcnt 0x0
	v_dot2_f32_f16 v1, v8, v131, v1
	scratch_load_b32 v8, off, off offset:432 th:TH_LOAD_LU ; 4-byte Folded Reload
	s_wait_loadcnt 0x0
	v_dot2_f32_f16 v2, v8, v131, v2
	scratch_load_b32 v8, off, off offset:436 th:TH_LOAD_LU ; 4-byte Folded Reload
	s_wait_loadcnt 0x0
	v_dot2_f32_f16 v3, v8, v131, v3
	scratch_load_b32 v8, off, off offset:440 th:TH_LOAD_LU ; 4-byte Folded Reload
	s_wait_loadcnt 0x0
	v_dot2_f32_f16 v4, v8, v131, v4
	scratch_load_b32 v8, off, off offset:444 th:TH_LOAD_LU ; 4-byte Folded Reload
	s_wait_loadcnt 0x0
	v_dot2_f32_f16 v5, v8, v131, v5
	scratch_load_b32 v8, off, off offset:448 th:TH_LOAD_LU ; 4-byte Folded Reload
	s_wait_loadcnt 0x0
	v_dot2_f32_f16 v6, v8, v131, v6
	scratch_load_b32 v8, off, off offset:404 th:TH_LOAD_LU ; 4-byte Folded Reload
	s_wait_loadcnt 0x0
	v_dot2_f32_f16 v1, v8, v86, v1
	scratch_load_b32 v8, off, off offset:408 th:TH_LOAD_LU ; 4-byte Folded Reload
	s_wait_loadcnt 0x0
	v_dot2_f32_f16 v2, v8, v86, v2
	scratch_load_b32 v8, off, off offset:412 th:TH_LOAD_LU ; 4-byte Folded Reload
	s_wait_loadcnt 0x0
	v_dot2_f32_f16 v3, v8, v86, v3
	scratch_load_b32 v8, off, off offset:416 th:TH_LOAD_LU ; 4-byte Folded Reload
	s_wait_loadcnt 0x0
	v_dot2_f32_f16 v4, v8, v86, v4
	scratch_load_b32 v8, off, off offset:420 th:TH_LOAD_LU ; 4-byte Folded Reload
	s_wait_loadcnt 0x0
	v_dot2_f32_f16 v5, v8, v86, v5
	scratch_load_b32 v8, off, off offset:424 th:TH_LOAD_LU ; 4-byte Folded Reload
	s_wait_loadcnt 0x0
	v_dot2_f32_f16 v6, v8, v86, v6
	scratch_load_b32 v8, off, off offset:380 th:TH_LOAD_LU ; 4-byte Folded Reload
	s_wait_loadcnt 0x0
	v_dot2_f32_f16 v1, v8, v212, v1
	scratch_load_b32 v8, off, off offset:384 th:TH_LOAD_LU ; 4-byte Folded Reload
	s_wait_loadcnt 0x0
	v_dot2_f32_f16 v2, v8, v212, v2
	scratch_load_b32 v8, off, off offset:388 th:TH_LOAD_LU ; 4-byte Folded Reload
	s_wait_loadcnt 0x0
	v_dot2_f32_f16 v3, v8, v212, v3
	scratch_load_b32 v8, off, off offset:392 th:TH_LOAD_LU ; 4-byte Folded Reload
	s_wait_loadcnt 0x0
	v_dot2_f32_f16 v4, v8, v212, v4
	scratch_load_b32 v8, off, off offset:396 th:TH_LOAD_LU ; 4-byte Folded Reload
	s_wait_loadcnt 0x0
	v_dot2_f32_f16 v5, v8, v212, v5
	scratch_load_b32 v8, off, off offset:400 th:TH_LOAD_LU ; 4-byte Folded Reload
	s_wait_loadcnt 0x0
	v_dot2_f32_f16 v6, v8, v212, v6
	scratch_load_b32 v8, off, off offset:328 th:TH_LOAD_LU ; 4-byte Folded Reload
	s_wait_loadcnt 0x0
	v_dot2_f32_f16 v1, v8, v207, v1
	scratch_load_b32 v8, off, off offset:332 th:TH_LOAD_LU ; 4-byte Folded Reload
	s_wait_loadcnt 0x0
	v_dot2_f32_f16 v2, v8, v207, v2
	scratch_load_b32 v8, off, off offset:336 th:TH_LOAD_LU ; 4-byte Folded Reload
	s_wait_loadcnt 0x0
	v_dot2_f32_f16 v3, v8, v207, v3
	scratch_load_b32 v8, off, off offset:340 th:TH_LOAD_LU ; 4-byte Folded Reload
	s_wait_loadcnt 0x0
	v_dot2_f32_f16 v4, v8, v207, v4
	scratch_load_b32 v8, off, off offset:344 th:TH_LOAD_LU ; 4-byte Folded Reload
	s_wait_loadcnt 0x0
	v_dot2_f32_f16 v5, v8, v207, v5
	scratch_load_b32 v8, off, off offset:348 th:TH_LOAD_LU ; 4-byte Folded Reload
	s_wait_loadcnt 0x0
	v_dot2_f32_f16 v6, v8, v207, v6
	s_clause 0x1
	scratch_load_b32 v8, off, off offset:304 th:TH_LOAD_LU
	scratch_load_b32 v52, off, off offset:156 th:TH_LOAD_LU
	v_add_nc_u32_e32 v49, 0x80, v49
	v_add_nc_u32_e32 v50, 0x80, v50
	;; [unrolled: 1-line block ×3, first 2 shown]
	s_wait_loadcnt 0x1
	v_dot2_f32_f16 v1, v8, v92, v1
	scratch_load_b32 v8, off, off offset:308 th:TH_LOAD_LU ; 4-byte Folded Reload
	s_wait_loadcnt 0x1
	v_add_nc_u32_e32 v52, 0x80, v52
	v_dot2_f32_f16 v244, v91, v94, v1
	s_wait_loadcnt 0x0
	v_dot2_f32_f16 v2, v8, v92, v2
	scratch_load_b32 v8, off, off offset:312 th:TH_LOAD_LU ; 4-byte Folded Reload
	v_dot2_f32_f16 v243, v206, v94, v2
	s_wait_loadcnt 0x0
	v_dot2_f32_f16 v3, v8, v92, v3
	scratch_load_b32 v8, off, off offset:316 th:TH_LOAD_LU ; 4-byte Folded Reload
	;; [unrolled: 4-line block ×4, first 2 shown]
	s_wait_dscnt 0x0
	s_barrier_signal -1
	s_barrier_wait -1
	scratch_load_b128 v[0:3], off, off offset:272 th:TH_LOAD_LU ; 16-byte Folded Reload
	v_dot2_f32_f16 v240, v211, v94, v5
	s_wait_loadcnt 0x1
	v_dot2_f32_f16 v6, v8, v92, v6
	scratch_load_b32 v8, off, off offset:616 ; 4-byte Folded Reload
	s_wait_loadcnt 0x1
	v_cndmask_b32_e64 v32, 0, v3, s1
	v_cndmask_b32_e64 v31, 0, v2, s1
	;; [unrolled: 1-line block ×4, first 2 shown]
	scratch_load_b128 v[0:3], off, off offset:256 th:TH_LOAD_LU ; 16-byte Folded Reload
	v_dot2_f32_f16 v239, v69, v94, v6
	scratch_load_b128 v[4:7], off, off offset:224 th:TH_LOAD_LU ; 16-byte Folded Reload
	s_wait_loadcnt 0x1
	v_cndmask_b32_e64 v28, 0, v3, s1
	v_cndmask_b32_e64 v27, 0, v2, s1
	;; [unrolled: 1-line block ×4, first 2 shown]
	scratch_load_b128 v[0:3], off, off offset:240 th:TH_LOAD_LU ; 16-byte Folded Reload
	s_wait_loadcnt 0x1
	v_cndmask_b32_e64 v7, 0, v7, s2
	v_cndmask_b32_e64 v6, 0, v6, s2
	;; [unrolled: 1-line block ×4, first 2 shown]
	s_wait_loadcnt 0x0
	v_cndmask_b32_e64 v3, 0, v3, s2
	v_cndmask_b32_e64 v2, 0, v2, s2
	;; [unrolled: 1-line block ×4, first 2 shown]
	ds_store_b128 v8, v[29:32]
	ds_store_b128 v8, v[25:28] offset:1040
	ds_store_b128 v8, v[0:3] offset:1056
	;; [unrolled: 1-line block ×3, first 2 shown]
	s_clause 0x2
	scratch_load_b128 v[4:7], off, off offset:192 th:TH_LOAD_LU
	scratch_load_b128 v[14:17], off, off offset:176 th:TH_LOAD_LU
	scratch_load_b128 v[0:3], off, off offset:208 th:TH_LOAD_LU
	s_wait_loadcnt 0x2
	v_cndmask_b32_e32 v11, 0, v7, vcc_lo
	s_wait_loadcnt 0x1
	v_cndmask_b32_e64 v12, 0, v17, s0
	v_cndmask_b32_e64 v7, 0, v16, s0
	scratch_load_b128 v[16:19], off, off offset:160 th:TH_LOAD_LU ; 16-byte Folded Reload
	s_wait_loadcnt 0x1
	v_cndmask_b32_e32 v8, 0, v1, vcc_lo
	v_cndmask_b32_e32 v10, 0, v5, vcc_lo
	v_cndmask_b32_e64 v13, 0, v15, s0
	v_cndmask_b32_e32 v4, 0, v4, vcc_lo
	v_cndmask_b32_e32 v6, 0, v6, vcc_lo
	v_cndmask_b32_e64 v5, 0, v14, s0
	v_dual_cndmask_b32 v9, 0, v3 :: v_dual_cndmask_b32 v0, 0, v0
	v_cndmask_b32_e32 v2, 0, v2, vcc_lo
	s_wait_loadcnt 0x0
	v_cndmask_b32_e64 v1, 0, v16, s0
	scratch_load_b32 v16, off, off offset:664 ; 4-byte Folded Reload
	v_cndmask_b32_e64 v14, 0, v19, s0
	v_cndmask_b32_e64 v15, 0, v17, s0
	;; [unrolled: 1-line block ×3, first 2 shown]
	s_wait_loadcnt 0x0
	ds_store_2addr_b32 v16, v11, v12 offset1:1
	scratch_load_b32 v11, off, off offset:660 ; 4-byte Folded Reload
	s_wait_loadcnt 0x0
	ds_store_2addr_b32 v11, v10, v13 offset1:1
	scratch_load_b32 v10, off, off offset:668 ; 4-byte Folded Reload
	s_wait_loadcnt 0x0
	ds_store_2addr_b64 v10, v[4:5], v[6:7] offset0:144 offset1:209
	scratch_load_b32 v4, off, off offset:656 ; 4-byte Folded Reload
	s_wait_loadcnt 0x0
	ds_store_2addr_b32 v4, v9, v14 offset1:1
	scratch_load_b32 v4, off, off offset:652 ; 4-byte Folded Reload
	s_wait_loadcnt 0x0
	ds_store_2addr_b32 v4, v8, v15 offset1:1
	ds_store_2addr_b64 v10, v[0:1], v[2:3] offset0:14 offset1:79
	s_cbranch_scc1 .LBB1_1
; %bb.2:
	s_wait_dscnt 0x0
	s_barrier_signal -1
	s_barrier_wait -1
	scratch_load_b32 v231, off, off offset:56 th:TH_LOAD_LU ; 4-byte Folded Reload
	s_wait_kmcnt 0x0
	s_lshl_b32 s7, s20, 3
	s_lshl_b32 s12, s16, 5
	s_mov_b32 s1, 0
	s_mov_b32 s0, s3
	;; [unrolled: 1-line block ×3, first 2 shown]
	s_wait_alu 0xfffe
	s_mul_u64 s[0:1], s[28:29], s[0:1]
	s_mov_b32 s0, s5
	s_wait_alu 0xfffe
	s_ashr_i32 s9, s1, 31
	s_mov_b32 s8, s1
	s_ashr_i32 s1, s5, 31
	s_wait_loadcnt 0x0
	ds_load_b128 v[9:12], v231
	ds_load_b128 v[21:24], v231 offset:1040
	ds_load_b128 v[37:40], v231 offset:2080
	;; [unrolled: 1-line block ×3, first 2 shown]
	scratch_load_b32 v3, off, off offset:608 th:TH_LOAD_LU ; 4-byte Folded Reload
	s_wait_alu 0xfffe
	s_add_nc_u64 s[0:1], s[8:9], s[0:1]
	s_lshr_b32 s1, s6, 5
	s_wait_alu 0xfffe
	s_lshl_b32 s10, s0, 1
	s_and_b32 s9, s19, 0xffff
	s_mov_b32 s8, s18
	s_wait_dscnt 0x2
	v_dual_mov_b32 v130, v11 :: v_dual_mov_b32 v141, v21
	v_dual_mov_b32 v126, v11 :: v_dual_mov_b32 v137, v12
	;; [unrolled: 1-line block ×3, first 2 shown]
	s_delay_alu instid0(VALU_DEP_3) | instskip(SKIP_1) | instid1(VALU_DEP_3)
	v_mov_b32_dpp v130, v130 dpp8:[4,4,4,4,4,4,4,4]
	v_dual_mov_b32 v136, v12 :: v_dual_mov_b32 v147, v22
	v_mov_b32_dpp v128, v128 dpp8:[2,2,2,2,2,2,2,2]
	v_dual_mov_b32 v132, v11 :: v_dual_mov_b32 v143, v21
	v_dual_mov_b32 v134, v12 :: v_dual_mov_b32 v145, v21
	s_delay_alu instid0(VALU_DEP_4)
	v_mov_b32_dpp v136, v136 dpp8:[3,3,3,3,3,3,3,3]
	v_mov_b32_dpp v137, v137 dpp8:[4,4,4,4,4,4,4,4]
	v_dual_mov_b32 v144, v21 :: v_dual_mov_b32 v155, v23
	v_mov_b32_dpp v126, v126 dpp8:[0,0,0,0,0,0,0,0]
	v_mov_b32_dpp v134, v134 dpp8:[1,1,1,1,1,1,1,1]
	v_dual_mov_b32 v140, v21 :: v_dual_mov_b32 v151, v22
	v_dual_mov_b32 v142, v21 :: v_dual_mov_b32 v153, v22
	v_mov_b32_dpp v143, v143 dpp8:[3,3,3,3,3,3,3,3]
	v_mov_b32_dpp v144, v144 dpp8:[4,4,4,4,4,4,4,4]
	v_dual_mov_b32 v150, v22 :: v_dual_mov_b32 v161, v24
	v_mov_b32_dpp v132, v132 dpp8:[6,6,6,6,6,6,6,6]
	v_dual_mov_b32 v138, v12 :: v_dual_mov_b32 v149, v22
	v_mov_b32_dpp v141, v141 dpp8:[1,1,1,1,1,1,1,1]
	v_mov_b32_dpp v142, v142 dpp8:[2,2,2,2,2,2,2,2]
	v_dual_mov_b32 v146, v21 :: v_dual_mov_b32 v157, v23
	v_dual_mov_b32 v148, v22 :: v_dual_mov_b32 v159, v23
	v_mov_b32_dpp v150, v150 dpp8:[3,3,3,3,3,3,3,3]
	v_mov_b32_dpp v151, v151 dpp8:[4,4,4,4,4,4,4,4]
	s_wait_dscnt 0x1
	v_dual_mov_b32 v158, v23 :: v_dual_mov_b32 v173, v37
	v_mov_b32_dpp v138, v138 dpp8:[5,5,5,5,5,5,5,5]
	v_mov_b32_dpp v139, v139 dpp8:[6,6,6,6,6,6,6,6]
	;; [unrolled: 1-line block ×5, first 2 shown]
	v_dual_mov_b32 v154, v23 :: v_dual_mov_b32 v165, v24
	v_dual_mov_b32 v156, v23 :: v_dual_mov_b32 v169, v24
	v_mov_b32_dpp v157, v157 dpp8:[3,3,3,3,3,3,3,3]
	v_mov_b32_dpp v158, v158 dpp8:[4,4,4,4,4,4,4,4]
	v_dual_mov_b32 v164, v24 :: v_dual_mov_b32 v179, v38
	v_mov_b32_dpp v145, v145 dpp8:[5,5,5,5,5,5,5,5]
	v_mov_b32_dpp v146, v146 dpp8:[6,6,6,6,6,6,6,6]
	;; [unrolled: 1-line block ×3, first 2 shown]
	v_dual_mov_b32 v152, v22 :: v_dual_mov_b32 v163, v24
	v_mov_b32_dpp v155, v155 dpp8:[1,1,1,1,1,1,1,1]
	v_mov_b32_dpp v156, v156 dpp8:[2,2,2,2,2,2,2,2]
	v_dual_mov_b32 v160, v23 :: v_dual_mov_b32 v175, v37
	v_dual_mov_b32 v162, v24 :: v_dual_mov_b32 v177, v37
	v_mov_b32_dpp v164, v164 dpp8:[3,3,3,3,3,3,3,3]
	v_mov_b32_dpp v165, v165 dpp8:[4,4,4,4,4,4,4,4]
	v_dual_mov_b32 v176, v37 :: v_dual_mov_b32 v187, v39
	v_mov_b32_dpp v21, v21 dpp8:[7,7,7,7,7,7,7,7]
	v_mov_b32_dpp v152, v152 dpp8:[5,5,5,5,5,5,5,5]
	;; [unrolled: 1-line block ×6, first 2 shown]
	v_dual_mov_b32 v172, v37 :: v_dual_mov_b32 v183, v38
	v_dual_mov_b32 v174, v37 :: v_dual_mov_b32 v185, v38
	v_mov_b32_dpp v175, v175 dpp8:[3,3,3,3,3,3,3,3]
	v_mov_b32_dpp v176, v176 dpp8:[4,4,4,4,4,4,4,4]
	v_dual_mov_b32 v182, v38 :: v_dual_mov_b32 v193, v40
	v_mov_b32_dpp v22, v22 dpp8:[7,7,7,7,7,7,7,7]
	v_mov_b32_dpp v159, v159 dpp8:[5,5,5,5,5,5,5,5]
	;; [unrolled: 1-line block ×4, first 2 shown]
	v_dual_mov_b32 v168, v24 :: v_dual_mov_b32 v181, v38
	v_mov_b32_dpp v173, v173 dpp8:[1,1,1,1,1,1,1,1]
	v_mov_b32_dpp v174, v174 dpp8:[2,2,2,2,2,2,2,2]
	v_dual_mov_b32 v178, v37 :: v_dual_mov_b32 v189, v39
	v_dual_mov_b32 v180, v38 :: v_dual_mov_b32 v191, v39
	v_mov_b32_dpp v182, v182 dpp8:[3,3,3,3,3,3,3,3]
	v_mov_b32_dpp v183, v183 dpp8:[4,4,4,4,4,4,4,4]
	s_wait_dscnt 0x0
	v_dual_mov_b32 v190, v39 :: v_dual_mov_b32 v207, v45
	v_mov_b32_dpp v23, v23 dpp8:[7,7,7,7,7,7,7,7]
	v_mov_b32_dpp v168, v168 dpp8:[5,5,5,5,5,5,5,5]
	;; [unrolled: 1-line block ×6, first 2 shown]
	v_dual_mov_b32 v184, v38 :: v_dual_mov_b32 v199, v40
	v_dual_mov_b32 v188, v39 :: v_dual_mov_b32 v205, v45
	v_mov_b32_dpp v189, v189 dpp8:[3,3,3,3,3,3,3,3]
	v_mov_b32_dpp v190, v190 dpp8:[4,4,4,4,4,4,4,4]
	v_dual_mov_b32 v200, v40 :: v_dual_mov_b32 v215, v46
	v_mov_b32_dpp v24, v24 dpp8:[7,7,7,7,7,7,7,7]
	v_mov_b32_dpp v177, v177 dpp8:[5,5,5,5,5,5,5,5]
	;; [unrolled: 1-line block ×4, first 2 shown]
	v_dual_mov_b32 v186, v39 :: v_dual_mov_b32 v201, v40
	v_mov_b32_dpp v187, v187 dpp8:[1,1,1,1,1,1,1,1]
	v_mov_b32_dpp v188, v188 dpp8:[2,2,2,2,2,2,2,2]
	v_dual_mov_b32 v194, v40 :: v_dual_mov_b32 v211, v46
	v_dual_mov_b32 v198, v40 :: v_dual_mov_b32 v213, v46
	v_mov_b32_dpp v199, v199 dpp8:[3,3,3,3,3,3,3,3]
	v_mov_b32_dpp v200, v200 dpp8:[4,4,4,4,4,4,4,4]
	;; [unrolled: 1-line block ×6, first 2 shown]
	v_dual_mov_b32 v192, v39 :: v_dual_mov_b32 v209, v45
	v_mov_b32_dpp v194, v194 dpp8:[1,1,1,1,1,1,1,1]
	v_mov_b32_dpp v198, v198 dpp8:[2,2,2,2,2,2,2,2]
	v_dual_mov_b32 v206, v45 :: v_dual_mov_b32 v221, v47
	v_mov_b32_dpp v207, v207 dpp8:[3,3,3,3,3,3,3,3]
	v_mov_b32_dpp v38, v38 dpp8:[7,7,7,7,7,7,7,7]
	;; [unrolled: 1-line block ×5, first 2 shown]
	v_dual_mov_b32 v202, v40 :: v_dual_mov_b32 v217, v46
	v_dual_mov_b32 v204, v45 :: v_dual_mov_b32 v219, v47
	v_mov_b32_dpp v205, v205 dpp8:[1,1,1,1,1,1,1,1]
	v_mov_b32_dpp v206, v206 dpp8:[2,2,2,2,2,2,2,2]
	;; [unrolled: 1-line block ×12, first 2 shown]
	v_mov_b32_e32 v216, v46
	v_mov_b32_dpp v219, v219 dpp8:[1,1,1,1,1,1,1,1]
	v_mov_b32_dpp v217, v217 dpp8:[6,6,6,6,6,6,6,6]
	v_dual_mov_b32 v65, v9 :: v_dual_mov_b32 v114, v9
	v_mov_b32_e32 v117, v9
	v_mov_b32_e32 v115, v9
	;; [unrolled: 1-line block ×3, first 2 shown]
	s_delay_alu instid0(VALU_DEP_4)
	v_mov_b32_dpp v65, v65 dpp8:[0,0,0,0,0,0,0,0]
	v_mov_b32_dpp v114, v114 dpp8:[1,1,1,1,1,1,1,1]
	;; [unrolled: 1-line block ×4, first 2 shown]
	v_mov_b32_e32 v121, v10
	v_mov_b32_e32 v123, v10
	v_mov_b32_dpp v119, v119 dpp8:[0,0,0,0,0,0,0,0]
	v_dual_mov_b32 v125, v10 :: v_dual_mov_b32 v116, v9
	s_delay_alu instid0(VALU_DEP_4) | instskip(NEXT) | instid1(VALU_DEP_4)
	v_mov_b32_dpp v121, v121 dpp8:[2,2,2,2,2,2,2,2]
	v_mov_b32_dpp v123, v123 dpp8:[4,4,4,4,4,4,4,4]
	v_mov_b32_e32 v127, v11
	v_mov_b32_e32 v129, v11
	v_mov_b32_dpp v116, v116 dpp8:[4,4,4,4,4,4,4,4]
	v_mov_b32_dpp v125, v125 dpp8:[6,6,6,6,6,6,6,6]
	v_dual_mov_b32 v118, v9 :: v_dual_mov_b32 v131, v11
	v_mov_b32_dpp v11, v11 dpp8:[7,7,7,7,7,7,7,7]
	v_mov_b32_dpp v129, v129 dpp8:[3,3,3,3,3,3,3,3]
	;; [unrolled: 1-line block ×3, first 2 shown]
	v_mov_b32_e32 v135, v12
	v_mov_b32_e32 v133, v12
	v_mov_b32_dpp v12, v12 dpp8:[7,7,7,7,7,7,7,7]
	v_mov_b32_dpp v118, v118 dpp8:[6,6,6,6,6,6,6,6]
	;; [unrolled: 1-line block ×5, first 2 shown]
	s_wait_loadcnt 0x0
	v_add_nc_u32_e32 v0, 0x2000, v3
	v_add_nc_u32_e32 v1, 0x2400, v3
	ds_load_b128 v[33:36], v231 offset:4160
	ds_load_b128 v[25:28], v231 offset:5200
	;; [unrolled: 1-line block ×4, first 2 shown]
	ds_load_2addr_b32 v[106:107], v0 offset0:28 offset1:60
	ds_load_2addr_b32 v[104:105], v0 offset0:93 offset1:125
	ds_load_2addr_b32 v[102:103], v0 offset0:158 offset1:190
	ds_load_2addr_b32 v[100:101], v0 offset0:223 offset1:255
	v_add_nc_u32_e32 v0, 0x2600, v3
	v_add_nc_u32_e32 v2, 0x2800, v3
	ds_load_2addr_b32 v[98:99], v1 offset0:32 offset1:64
	ds_load_2addr_b32 v[96:97], v1 offset0:97 offset1:129
	ds_load_2addr_b32 v[94:95], v1 offset0:162 offset1:194
	ds_load_2addr_b32 v[92:93], v0 offset0:99 offset1:131
	v_add_nc_u32_e32 v0, 0x2a00, v3
	v_add_nc_u32_e32 v1, 0x2c00, v3
	;; [unrolled: 6-line block ×6, first 2 shown]
	ds_load_2addr_b32 v[57:58], v2 offset0:52 offset1:84
	ds_load_2addr_b32 v[55:56], v2 offset0:117 offset1:149
	;; [unrolled: 1-line block ×5, first 2 shown]
	v_add_nc_u32_e32 v1, 0x3e00, v3
	ds_load_b128 v[29:32], v231 offset:512
	s_wait_dscnt 0x1d
	v_dot2_f32_f16 v4, v115, v106, v120
	v_mov_b32_e32 v120, v10
	ds_load_2addr_b32 v[112:113], v0 offset0:121 offset1:153
	ds_load_2addr_b32 v[110:111], v0 offset0:186 offset1:218
	;; [unrolled: 1-line block ×3, first 2 shown]
	s_clause 0xc
	scratch_load_b32 v3, off, off offset:140 th:TH_LOAD_LU
	scratch_load_b32 v1, off, off offset:124 th:TH_LOAD_LU
	;; [unrolled: 1-line block ×13, first 2 shown]
	v_mov_b32_e32 v0, v9
	v_dot2_f32_f16 v5, v116, v106, v122
	v_mov_b32_e32 v122, v10
	v_dot2_f32_f16 v2, v114, v106, v124
	v_mov_b32_dpp v120, v120 dpp8:[1,1,1,1,1,1,1,1]
	v_mov_b32_dpp v0, v0 dpp8:[2,2,2,2,2,2,2,2]
	s_wait_dscnt 0x1f
	v_dot2_f32_f16 v5, v123, v104, v5
	v_mov_b32_dpp v122, v122 dpp8:[3,3,3,3,3,3,3,3]
	v_mov_b32_e32 v124, v10
	v_dot2_f32_f16 v2, v120, v104, v2
	v_mov_b32_dpp v9, v9 dpp8:[7,7,7,7,7,7,7,7]
	s_wait_dscnt 0x1e
	v_dot2_f32_f16 v5, v130, v102, v5
	v_dot2_f32_f16 v4, v122, v104, v4
	v_mov_b32_dpp v124, v124 dpp8:[5,5,5,5,5,5,5,5]
	v_dot2_f32_f16 v2, v127, v102, v2
	v_mov_b32_dpp v10, v10 dpp8:[7,7,7,7,7,7,7,7]
	s_wait_dscnt 0x1d
	v_dot2_f32_f16 v5, v137, v100, v5
	v_dot2_f32_f16 v4, v129, v102, v4
	v_mov_b32_e32 v208, v45
	v_dot2_f32_f16 v2, v134, v100, v2
	v_mov_b32_e32 v214, v46
	s_wait_dscnt 0x1c
	v_dot2_f32_f16 v5, v144, v98, v5
	v_dot2_f32_f16 v4, v136, v100, v4
	v_mov_b32_e32 v212, v46
	v_dot2_f32_f16 v2, v141, v98, v2
	v_mov_b32_e32 v222, v47
	s_wait_dscnt 0x1b
	v_dot2_f32_f16 v5, v151, v96, v5
	v_dot2_f32_f16 v4, v143, v98, v4
	v_mov_b32_e32 v210, v45
	v_dot2_f32_f16 v2, v148, v96, v2
	v_mov_b32_e32 v220, v47
	s_wait_dscnt 0x1a
	v_dot2_f32_f16 v5, v158, v94, v5
	v_dot2_f32_f16 v4, v150, v96, v4
	v_mov_b32_e32 v218, v47
	v_dot2_f32_f16 v2, v155, v94, v2
	v_mov_b32_dpp v45, v45 dpp8:[7,7,7,7,7,7,7,7]
	s_wait_dscnt 0x19
	v_dot2_f32_f16 v5, v165, v92, v5
	v_dot2_f32_f16 v4, v157, v94, v4
	v_mov_b32_dpp v46, v46 dpp8:[7,7,7,7,7,7,7,7]
	v_dot2_f32_f16 v167, v162, v92, v2
	ds_load_b128 v[41:44], v231 offset:1552
	s_wait_dscnt 0x19
	v_dot2_f32_f16 v5, v176, v90, v5
	v_dot2_f32_f16 v171, v164, v92, v4
	v_mov_b32_e32 v232, v15
	v_dot2_f32_f16 v167, v173, v90, v167
	v_mov_b32_e32 v234, v16
	s_wait_dscnt 0x18
	v_dot2_f32_f16 v5, v183, v88, v5
	v_dot2_f32_f16 v171, v175, v90, v171
	v_mov_b32_e32 v236, v16
	v_dot2_f32_f16 v167, v180, v88, v167
	v_mov_b32_e32 v233, v16
	s_wait_dscnt 0x17
	v_dot2_f32_f16 v5, v190, v86, v5
	v_dot2_f32_f16 v171, v182, v88, v171
	v_mov_b32_e32 v235, v16
	v_dot2_f32_f16 v167, v187, v86, v167
	v_mov_b32_dpp v233, v233 dpp8:[1,1,1,1,1,1,1,1]
	s_wait_dscnt 0x16
	v_dot2_f32_f16 v203, v200, v84, v5
	v_dot2_f32_f16 v171, v189, v86, v171
	v_mov_b32_dpp v235, v235 dpp8:[4,4,4,4,4,4,4,4]
	v_dot2_f32_f16 v167, v194, v84, v167
	s_delay_alu instid0(VALU_DEP_3) | instskip(SKIP_1) | instid1(VALU_DEP_2)
	v_dot2_f32_f16 v171, v199, v84, v171
	s_wait_dscnt 0x15
	v_dot2_f32_f16 v167, v205, v82, v167
	s_delay_alu instid0(VALU_DEP_2)
	v_dot2_f32_f16 v171, v207, v82, v171
	s_wait_loadcnt 0xc
	v_dot2_f32_f16 v3, v0, v106, v3
	s_wait_loadcnt 0xb
	;; [unrolled: 2-line block ×5, first 2 shown]
	v_dot2_f32_f16 v7, v118, v106, v7
	v_dot2_f32_f16 v3, v121, v104, v3
	;; [unrolled: 1-line block ×3, first 2 shown]
	s_wait_loadcnt 0x7
	v_dot2_f32_f16 v65, v65, v107, v223
	s_wait_loadcnt 0x6
	v_dot2_f32_f16 v114, v114, v107, v224
	;; [unrolled: 2-line block ×3, first 2 shown]
	v_dot2_f32_f16 v3, v128, v102, v3
	s_wait_loadcnt 0x4
	v_dot2_f32_f16 v115, v115, v107, v226
	s_wait_loadcnt 0x3
	;; [unrolled: 2-line block ×4, first 2 shown]
	v_dot2_f32_f16 v118, v118, v107, v229
	v_dot2_f32_f16 v6, v124, v104, v6
	;; [unrolled: 1-line block ×5, first 2 shown]
	s_wait_loadcnt 0x0
	v_dot2_f32_f16 v9, v9, v107, v230
	v_dot2_f32_f16 v65, v119, v105, v65
	;; [unrolled: 1-line block ×91, first 2 shown]
	v_mov_b32_e32 v223, v47
	v_mov_b32_dpp v208, v208 dpp8:[4,4,4,4,4,4,4,4]
	v_dot2_f32_f16 v149, v24, v93, v21
	v_dot2_f32_f16 v65, v172, v91, v65
	;; [unrolled: 1-line block ×14, first 2 shown]
	v_mov_b32_e32 v229, v48
	v_mov_b32_dpp v214, v214 dpp8:[3,3,3,3,3,3,3,3]
	v_dot2_f32_f16 v37, v37, v91, v149
	v_dot2_f32_f16 v65, v179, v89, v65
	;; [unrolled: 1-line block ×13, first 2 shown]
	s_wait_dscnt 0x14
	v_dot2_f32_f16 v171, v214, v80, v171
	v_dot2_f32_f16 v203, v215, v80, v203
	v_mov_b32_e32 v227, v48
	v_mov_b32_dpp v212, v212 dpp8:[1,1,1,1,1,1,1,1]
	v_dual_mov_b32 v228, v48 :: v_dual_mov_b32 v133, v34
	v_mov_b32_e32 v127, v33
	v_mov_b32_dpp v222, v222 dpp8:[4,4,4,4,4,4,4,4]
	v_dot2_f32_f16 v37, v38, v89, v37
	v_dot2_f32_f16 v65, v186, v87, v65
	;; [unrolled: 1-line block ×14, first 2 shown]
	s_wait_dscnt 0x13
	v_dot2_f32_f16 v171, v221, v78, v171
	v_mov_b32_e32 v225, v48
	v_mov_b32_dpp v210, v210 dpp8:[6,6,6,6,6,6,6,6]
	v_dot2_f32_f16 v203, v222, v78, v203
	v_dual_mov_b32 v226, v48 :: v_dual_mov_b32 v131, v34
	v_mov_b32_dpp v228, v228 dpp8:[3,3,3,3,3,3,3,3]
	v_mov_b32_dpp v229, v229 dpp8:[4,4,4,4,4,4,4,4]
	v_dual_mov_b32 v124, v33 :: v_dual_mov_b32 v141, v35
	v_mov_b32_e32 v125, v33
	v_mov_b32_dpp v220, v220 dpp8:[2,2,2,2,2,2,2,2]
	v_dot2_f32_f16 v37, v39, v87, v37
	v_dot2_f32_f16 v65, v193, v85, v65
	;; [unrolled: 1-line block ×14, first 2 shown]
	v_dual_mov_b32 v224, v47 :: v_dual_mov_b32 v129, v34
	v_mov_b32_dpp v226, v226 dpp8:[1,1,1,1,1,1,1,1]
	v_mov_b32_dpp v227, v227 dpp8:[2,2,2,2,2,2,2,2]
	v_mov_b32_e32 v119, v48
	v_mov_b32_dpp v216, v216 dpp8:[5,5,5,5,5,5,5,5]
	s_wait_dscnt 0x12
	v_dot2_f32_f16 v171, v228, v76, v171
	v_dot2_f32_f16 v203, v229, v76, v203
	v_dual_mov_b32 v122, v33 :: v_dual_mov_b32 v139, v35
	v_mov_b32_e32 v123, v33
	v_mov_b32_dpp v218, v218 dpp8:[0,0,0,0,0,0,0,0]
	v_mov_b32_dpp v124, v124 dpp8:[3,3,3,3,3,3,3,3]
	;; [unrolled: 1-line block ×3, first 2 shown]
	v_dual_mov_b32 v132, v34 :: v_dual_mov_b32 v147, v36
	v_dot2_f32_f16 v180, v40, v85, v37
	v_dot2_f32_f16 v65, v204, v83, v65
	;; [unrolled: 1-line block ×12, first 2 shown]
	v_mov_b32_dpp v223, v223 dpp8:[5,5,5,5,5,5,5,5]
	v_mov_b32_dpp v224, v224 dpp8:[6,6,6,6,6,6,6,6]
	;; [unrolled: 1-line block ×3, first 2 shown]
	v_dot2_f32_f16 v167, v226, v76, v167
	v_dot2_f32_f16 v170, v227, v76, v170
	v_dual_mov_b32 v120, v48 :: v_dual_mov_b32 v135, v35
	v_dual_mov_b32 v230, v33 :: v_dual_mov_b32 v137, v35
	v_mov_b32_dpp v122, v122 dpp8:[1,1,1,1,1,1,1,1]
	v_mov_b32_dpp v123, v123 dpp8:[2,2,2,2,2,2,2,2]
	s_wait_dscnt 0x11
	v_dot2_f32_f16 v171, v124, v74, v171
	v_dot2_f32_f16 v203, v125, v74, v203
	v_dual_mov_b32 v130, v34 :: v_dual_mov_b32 v121, v36
	v_mov_b32_dpp v131, v131 dpp8:[3,3,3,3,3,3,3,3]
	v_mov_b32_dpp v132, v132 dpp8:[4,4,4,4,4,4,4,4]
	v_dual_mov_b32 v138, v35 :: v_dual_mov_b32 v153, v25
	v_dot2_f32_f16 v45, v45, v83, v180
	v_dot2_f32_f16 v65, v211, v81, v65
	;; [unrolled: 1-line block ×10, first 2 shown]
	v_mov_b32_dpp v47, v47 dpp8:[7,7,7,7,7,7,7,7]
	v_dot2_f32_f16 v196, v224, v78, v196
	v_dot2_f32_f16 v166, v225, v76, v166
	v_mov_b32_dpp v119, v119 dpp8:[5,5,5,5,5,5,5,5]
	v_mov_b32_dpp v120, v120 dpp8:[6,6,6,6,6,6,6,6]
	;; [unrolled: 1-line block ×3, first 2 shown]
	v_dot2_f32_f16 v167, v122, v74, v167
	v_dual_mov_b32 v126, v33 :: v_dual_mov_b32 v143, v36
	v_dot2_f32_f16 v170, v123, v74, v170
	v_dual_mov_b32 v128, v34 :: v_dual_mov_b32 v145, v36
	v_mov_b32_dpp v129, v129 dpp8:[1,1,1,1,1,1,1,1]
	v_mov_b32_dpp v130, v130 dpp8:[2,2,2,2,2,2,2,2]
	s_wait_dscnt 0x10
	v_dot2_f32_f16 v171, v131, v72, v171
	v_dot2_f32_f16 v203, v132, v72, v203
	v_dual_mov_b32 v136, v35 :: v_dual_mov_b32 v151, v25
	v_mov_b32_dpp v138, v138 dpp8:[3,3,3,3,3,3,3,3]
	v_mov_b32_dpp v139, v139 dpp8:[4,4,4,4,4,4,4,4]
	v_dual_mov_b32 v146, v36 :: v_dual_mov_b32 v161, v26
	v_dot2_f32_f16 v45, v46, v81, v45
	v_dot2_f32_f16 v65, v218, v79, v65
	;; [unrolled: 1-line block ×9, first 2 shown]
	v_mov_b32_dpp v48, v48 dpp8:[7,7,7,7,7,7,7,7]
	v_dot2_f32_f16 v195, v119, v76, v195
	v_dot2_f32_f16 v196, v120, v76, v196
	;; [unrolled: 1-line block ×3, first 2 shown]
	v_mov_b32_dpp v126, v126 dpp8:[5,5,5,5,5,5,5,5]
	v_mov_b32_dpp v127, v127 dpp8:[6,6,6,6,6,6,6,6]
	;; [unrolled: 1-line block ×3, first 2 shown]
	v_dot2_f32_f16 v167, v129, v72, v167
	v_mov_b32_e32 v134, v34
	v_dot2_f32_f16 v170, v130, v72, v170
	v_mov_b32_dpp v136, v136 dpp8:[1,1,1,1,1,1,1,1]
	v_mov_b32_dpp v137, v137 dpp8:[2,2,2,2,2,2,2,2]
	s_wait_dscnt 0xf
	v_dot2_f32_f16 v171, v138, v70, v171
	v_dot2_f32_f16 v203, v139, v70, v203
	v_dual_mov_b32 v144, v36 :: v_dual_mov_b32 v159, v26
	v_mov_b32_dpp v145, v145 dpp8:[3,3,3,3,3,3,3,3]
	v_mov_b32_dpp v146, v146 dpp8:[4,4,4,4,4,4,4,4]
	v_dot2_f32_f16 v45, v47, v79, v45
	v_dot2_f32_f16 v65, v225, v77, v65
	;; [unrolled: 1-line block ×11, first 2 shown]
	v_mov_b32_dpp v33, v33 dpp8:[7,7,7,7,7,7,7,7]
	v_dot2_f32_f16 v166, v128, v72, v166
	v_mov_b32_dpp v133, v133 dpp8:[5,5,5,5,5,5,5,5]
	v_mov_b32_dpp v135, v135 dpp8:[0,0,0,0,0,0,0,0]
	v_dual_mov_b32 v140, v35 :: v_dual_mov_b32 v155, v25
	v_dot2_f32_f16 v167, v136, v70, v167
	v_dot2_f32_f16 v170, v137, v70, v170
	v_dual_mov_b32 v142, v36 :: v_dual_mov_b32 v157, v26
	v_mov_b32_dpp v143, v143 dpp8:[1,1,1,1,1,1,1,1]
	v_mov_b32_dpp v144, v144 dpp8:[2,2,2,2,2,2,2,2]
	s_wait_dscnt 0xe
	v_dot2_f32_f16 v148, v145, v68, v171
	v_dot2_f32_f16 v171, v146, v68, v203
	v_mov_b32_e32 v203, v25
	v_mov_b32_dpp v134, v134 dpp8:[6,6,6,6,6,6,6,6]
	v_dual_mov_b32 v150, v25 :: v_dual_mov_b32 v163, v27
	v_dot2_f32_f16 v212, v48, v77, v45
	v_dot2_f32_f16 v65, v230, v75, v65
	;; [unrolled: 1-line block ×11, first 2 shown]
	v_mov_b32_dpp v34, v34 dpp8:[7,7,7,7,7,7,7,7]
	v_dot2_f32_f16 v166, v135, v70, v166
	v_mov_b32_dpp v140, v140 dpp8:[5,5,5,5,5,5,5,5]
	v_mov_b32_dpp v141, v141 dpp8:[6,6,6,6,6,6,6,6]
	;; [unrolled: 1-line block ×3, first 2 shown]
	v_dot2_f32_f16 v167, v143, v68, v167
	v_dot2_f32_f16 v170, v144, v68, v170
	v_mov_b32_dpp v150, v150 dpp8:[1,1,1,1,1,1,1,1]
	v_mov_b32_dpp v151, v151 dpp8:[2,2,2,2,2,2,2,2]
	;; [unrolled: 1-line block ×3, first 2 shown]
	v_dual_mov_b32 v158, v26 :: v_dual_mov_b32 v175, v28
	v_dual_mov_b32 v160, v26 :: v_dual_mov_b32 v177, v28
	v_dot2_f32_f16 v128, v128, v73, v65
	v_dot2_f32_f16 v33, v33, v75, v212
	;; [unrolled: 1-line block ×10, first 2 shown]
	v_mov_b32_dpp v35, v35 dpp8:[7,7,7,7,7,7,7,7]
	v_dot2_f32_f16 v196, v141, v70, v196
	v_dot2_f32_f16 v166, v142, v68, v166
	v_mov_b32_dpp v121, v121 dpp8:[5,5,5,5,5,5,5,5]
	v_mov_b32_dpp v147, v147 dpp8:[6,6,6,6,6,6,6,6]
	;; [unrolled: 1-line block ×3, first 2 shown]
	v_dual_mov_b32 v152, v25 :: v_dual_mov_b32 v165, v27
	s_wait_dscnt 0xd
	v_dot2_f32_f16 v167, v150, v66, v167
	v_dual_mov_b32 v154, v25 :: v_dual_mov_b32 v169, v27
	v_dot2_f32_f16 v170, v151, v66, v170
	v_dot2_f32_f16 v171, v153, v66, v171
	v_dual_mov_b32 v156, v26 :: v_dual_mov_b32 v173, v27
	v_mov_b32_dpp v157, v157 dpp8:[1,1,1,1,1,1,1,1]
	v_mov_b32_dpp v158, v158 dpp8:[2,2,2,2,2,2,2,2]
	;; [unrolled: 1-line block ×3, first 2 shown]
	v_dual_mov_b32 v164, v27 :: v_dual_mov_b32 v179, v28
	v_dot2_f32_f16 v33, v34, v73, v33
	v_dot2_f32_f16 v34, v135, v71, v128
	;; [unrolled: 1-line block ×9, first 2 shown]
	v_mov_b32_dpp v36, v36 dpp8:[7,7,7,7,7,7,7,7]
	v_dot2_f32_f16 v195, v121, v68, v195
	v_dot2_f32_f16 v196, v147, v68, v196
	;; [unrolled: 1-line block ×3, first 2 shown]
	v_mov_b32_dpp v152, v152 dpp8:[3,3,3,3,3,3,3,3]
	v_mov_b32_dpp v154, v154 dpp8:[5,5,5,5,5,5,5,5]
	;; [unrolled: 1-line block ×4, first 2 shown]
	s_wait_dscnt 0xc
	v_dot2_f32_f16 v167, v157, v63, v167
	v_dual_mov_b32 v162, v26 :: v_dual_mov_b32 v149, v28
	v_dot2_f32_f16 v170, v158, v63, v170
	v_dot2_f32_f16 v171, v160, v63, v171
	v_mov_b32_dpp v164, v164 dpp8:[1,1,1,1,1,1,1,1]
	v_mov_b32_dpp v165, v165 dpp8:[2,2,2,2,2,2,2,2]
	;; [unrolled: 1-line block ×3, first 2 shown]
	v_dual_mov_b32 v176, v28 :: v_dual_mov_b32 v187, v17
	v_dual_mov_b32 v178, v28 :: v_dual_mov_b32 v189, v18
	v_dot2_f32_f16 v33, v35, v71, v33
	v_dot2_f32_f16 v34, v142, v69, v34
	;; [unrolled: 1-line block ×10, first 2 shown]
	v_mov_b32_dpp v25, v25 dpp8:[7,7,7,7,7,7,7,7]
	v_dot2_f32_f16 v166, v156, v63, v166
	v_mov_b32_dpp v159, v159 dpp8:[3,3,3,3,3,3,3,3]
	v_mov_b32_dpp v161, v161 dpp8:[5,5,5,5,5,5,5,5]
	;; [unrolled: 1-line block ×4, first 2 shown]
	v_dual_mov_b32 v168, v27 :: v_dual_mov_b32 v181, v17
	v_dual_mov_b32 v172, v27 :: v_dual_mov_b32 v183, v17
	s_wait_dscnt 0xb
	v_dot2_f32_f16 v167, v164, v61, v167
	v_dot2_f32_f16 v170, v165, v61, v170
	v_dual_mov_b32 v174, v28 :: v_dual_mov_b32 v185, v17
	v_dot2_f32_f16 v171, v169, v61, v171
	v_mov_b32_dpp v175, v175 dpp8:[1,1,1,1,1,1,1,1]
	v_mov_b32_dpp v176, v176 dpp8:[2,2,2,2,2,2,2,2]
	v_mov_b32_dpp v178, v178 dpp8:[4,4,4,4,4,4,4,4]
	v_dual_mov_b32 v182, v17 :: v_dual_mov_b32 v191, v18
	v_dot2_f32_f16 v33, v36, v69, v33
	v_dot2_f32_f16 v34, v203, v67, v34
	;; [unrolled: 1-line block ×11, first 2 shown]
	v_mov_b32_dpp v26, v26 dpp8:[7,7,7,7,7,7,7,7]
	v_dot2_f32_f16 v166, v163, v61, v166
	v_mov_b32_dpp v168, v168 dpp8:[3,3,3,3,3,3,3,3]
	v_mov_b32_dpp v172, v172 dpp8:[5,5,5,5,5,5,5,5]
	;; [unrolled: 1-line block ×4, first 2 shown]
	s_wait_dscnt 0xa
	v_dot2_f32_f16 v167, v175, v59, v167
	v_dot2_f32_f16 v170, v176, v59, v170
	;; [unrolled: 1-line block ×3, first 2 shown]
	v_mov_b32_dpp v182, v182 dpp8:[1,1,1,1,1,1,1,1]
	v_mov_b32_dpp v183, v183 dpp8:[2,2,2,2,2,2,2,2]
	;; [unrolled: 1-line block ×3, first 2 shown]
	v_dual_mov_b32 v190, v18 :: v_dual_mov_b32 v205, v19
	v_dual_mov_b32 v192, v18 :: v_dual_mov_b32 v207, v20
	v_dot2_f32_f16 v25, v25, v67, v33
	v_dot2_f32_f16 v33, v156, v64, v34
	;; [unrolled: 1-line block ×10, first 2 shown]
	v_mov_b32_dpp v27, v27 dpp8:[7,7,7,7,7,7,7,7]
	v_dot2_f32_f16 v196, v173, v61, v196
	v_dot2_f32_f16 v166, v174, v59, v166
	v_mov_b32_dpp v177, v177 dpp8:[3,3,3,3,3,3,3,3]
	v_mov_b32_dpp v149, v149 dpp8:[5,5,5,5,5,5,5,5]
	;; [unrolled: 1-line block ×4, first 2 shown]
	v_dual_mov_b32 v184, v17 :: v_dual_mov_b32 v193, v18
	s_wait_dscnt 0x9
	v_dot2_f32_f16 v167, v182, v57, v167
	v_dual_mov_b32 v186, v17 :: v_dual_mov_b32 v199, v19
	v_dot2_f32_f16 v170, v183, v57, v170
	v_dot2_f32_f16 v171, v185, v57, v171
	v_dual_mov_b32 v188, v18 :: v_dual_mov_b32 v201, v19
	v_mov_b32_dpp v189, v189 dpp8:[1,1,1,1,1,1,1,1]
	v_mov_b32_dpp v190, v190 dpp8:[2,2,2,2,2,2,2,2]
	;; [unrolled: 1-line block ×3, first 2 shown]
	v_mov_b32_e32 v200, v19
	v_dual_mov_b32 v202, v19 :: v_dual_mov_b32 v213, v13
	v_dot2_f32_f16 v25, v26, v64, v25
	v_dot2_f32_f16 v26, v163, v62, v33
	;; [unrolled: 1-line block ×8, first 2 shown]
	ds_load_b128 v[1:4], v231 offset:2592
	ds_load_b128 v[5:8], v231 offset:3632
	;; [unrolled: 1-line block ×5, first 2 shown]
	v_dot2_f32_f16 v195, v172, v61, v195
	v_dot2_f32_f16 v197, v27, v61, v197
	v_mov_b32_dpp v28, v28 dpp8:[7,7,7,7,7,7,7,7]
	v_dot2_f32_f16 v196, v179, v59, v196
	v_dot2_f32_f16 v166, v181, v57, v166
	v_mov_b32_dpp v184, v184 dpp8:[3,3,3,3,3,3,3,3]
	v_mov_b32_dpp v186, v186 dpp8:[5,5,5,5,5,5,5,5]
	;; [unrolled: 1-line block ×4, first 2 shown]
	s_wait_dscnt 0xd
	v_dot2_f32_f16 v167, v189, v55, v167
	v_dual_mov_b32 v194, v18 :: v_dual_mov_b32 v209, v20
	v_dot2_f32_f16 v170, v190, v55, v170
	v_dual_mov_b32 v198, v19 :: v_dual_mov_b32 v211, v20
	v_dot2_f32_f16 v171, v192, v55, v171
	v_mov_b32_dpp v199, v199 dpp8:[1,1,1,1,1,1,1,1]
	v_mov_b32_dpp v202, v202 dpp8:[4,4,4,4,4,4,4,4]
	v_dual_mov_b32 v208, v20 :: v_dual_mov_b32 v219, v14
	v_dual_mov_b32 v210, v20 :: v_dual_mov_b32 v221, v14
	ds_load_b128 v[45:48], v231 offset:7792
	v_mov_b32_e32 v231, v13
	v_mov_b32_dpp v200, v200 dpp8:[2,2,2,2,2,2,2,2]
	v_dot2_f32_f16 v25, v27, v62, v25
	v_dot2_f32_f16 v26, v174, v60, v26
	;; [unrolled: 1-line block ×11, first 2 shown]
	v_mov_b32_dpp v17, v17 dpp8:[7,7,7,7,7,7,7,7]
	v_dot2_f32_f16 v166, v188, v55, v166
	v_mov_b32_dpp v191, v191 dpp8:[3,3,3,3,3,3,3,3]
	v_mov_b32_dpp v193, v193 dpp8:[5,5,5,5,5,5,5,5]
	;; [unrolled: 1-line block ×4, first 2 shown]
	v_dual_mov_b32 v204, v19 :: v_dual_mov_b32 v215, v13
	s_wait_dscnt 0xd
	v_dot2_f32_f16 v167, v199, v53, v167
	v_dot2_f32_f16 v170, v200, v53, v170
	v_dual_mov_b32 v206, v20 :: v_dual_mov_b32 v217, v13
	v_dot2_f32_f16 v171, v202, v53, v171
	v_mov_b32_dpp v207, v207 dpp8:[1,1,1,1,1,1,1,1]
	v_mov_b32_dpp v208, v208 dpp8:[2,2,2,2,2,2,2,2]
	;; [unrolled: 1-line block ×3, first 2 shown]
	v_dual_mov_b32 v214, v13 :: v_dual_mov_b32 v225, v14
	v_dual_mov_b32 v216, v13 :: v_dual_mov_b32 v227, v15
	v_dot2_f32_f16 v25, v28, v60, v25
	v_dot2_f32_f16 v26, v181, v58, v26
	;; [unrolled: 1-line block ×11, first 2 shown]
	v_mov_b32_dpp v18, v18 dpp8:[7,7,7,7,7,7,7,7]
	v_dot2_f32_f16 v166, v198, v53, v166
	v_mov_b32_dpp v201, v201 dpp8:[3,3,3,3,3,3,3,3]
	v_mov_b32_dpp v204, v204 dpp8:[5,5,5,5,5,5,5,5]
	v_mov_b32_dpp v205, v205 dpp8:[6,6,6,6,6,6,6,6]
	v_mov_b32_dpp v206, v206 dpp8:[0,0,0,0,0,0,0,0]
	s_wait_dscnt 0xc
	v_dot2_f32_f16 v167, v207, v51, v167
	v_dot2_f32_f16 v170, v208, v51, v170
	v_dual_mov_b32 v180, v20 :: v_dual_mov_b32 v223, v14
	v_dot2_f32_f16 v171, v210, v51, v171
	v_mov_b32_dpp v213, v213 dpp8:[1,1,1,1,1,1,1,1]
	v_mov_b32_dpp v214, v214 dpp8:[2,2,2,2,2,2,2,2]
	;; [unrolled: 1-line block ×3, first 2 shown]
	v_mov_b32_e32 v220, v14
	v_dot2_f32_f16 v17, v17, v58, v25
	v_dot2_f32_f16 v25, v188, v56, v26
	;; [unrolled: 1-line block ×10, first 2 shown]
	v_mov_b32_dpp v19, v19 dpp8:[7,7,7,7,7,7,7,7]
	v_dot2_f32_f16 v196, v205, v53, v196
	v_dot2_f32_f16 v166, v206, v51, v166
	v_mov_b32_dpp v209, v209 dpp8:[3,3,3,3,3,3,3,3]
	v_mov_b32_dpp v180, v180 dpp8:[5,5,5,5,5,5,5,5]
	v_mov_b32_dpp v211, v211 dpp8:[6,6,6,6,6,6,6,6]
	v_mov_b32_dpp v231, v231 dpp8:[0,0,0,0,0,0,0,0]
	s_wait_dscnt 0xb
	v_dot2_f32_f16 v167, v213, v49, v167
	v_dual_mov_b32 v218, v13 :: v_dual_mov_b32 v229, v15
	v_dot2_f32_f16 v170, v214, v49, v170
	v_dot2_f32_f16 v171, v216, v49, v171
	v_mov_b32_dpp v220, v220 dpp8:[1,1,1,1,1,1,1,1]
	v_mov_b32_dpp v221, v221 dpp8:[2,2,2,2,2,2,2,2]
	;; [unrolled: 1-line block ×3, first 2 shown]
	v_dual_mov_b32 v228, v15 :: v_dual_mov_b32 v127, v16
	v_dot2_f32_f16 v17, v18, v56, v17
	v_dot2_f32_f16 v18, v198, v54, v25
	;; [unrolled: 1-line block ×10, first 2 shown]
	v_mov_b32_dpp v20, v20 dpp8:[7,7,7,7,7,7,7,7]
	v_dot2_f32_f16 v196, v211, v51, v196
	v_dot2_f32_f16 v166, v231, v49, v166
	v_mov_b32_dpp v215, v215 dpp8:[3,3,3,3,3,3,3,3]
	v_mov_b32_dpp v217, v217 dpp8:[5,5,5,5,5,5,5,5]
	;; [unrolled: 1-line block ×4, first 2 shown]
	v_mov_b32_e32 v222, v14
	s_wait_dscnt 0x9
	v_dot2_f32_f16 v167, v220, v112, v167
	v_mov_b32_e32 v224, v14
	v_dot2_f32_f16 v170, v221, v112, v170
	v_mov_b32_e32 v226, v15
	v_dot2_f32_f16 v171, v223, v112, v171
	v_mov_b32_dpp v227, v227 dpp8:[1,1,1,1,1,1,1,1]
	v_mov_b32_dpp v228, v228 dpp8:[2,2,2,2,2,2,2,2]
	v_dot2_f32_f16 v17, v19, v54, v17
	v_dot2_f32_f16 v18, v206, v52, v18
	v_dot2_f32_f16 v19, v207, v52, v25
	v_dot2_f32_f16 v25, v208, v52, v26
	v_dot2_f32_f16 v26, v209, v52, v27
	v_dot2_f32_f16 v27, v210, v52, v28
	v_dot2_f32_f16 v28, v180, v52, v33
	v_dot2_f32_f16 v33, v211, v52, v34
	v_mov_b32_e32 v163, v29
	v_mov_b32_dpp v232, v232 dpp8:[4,4,4,4,4,4,4,4]
	v_dot2_f32_f16 v195, v180, v51, v195
	v_dot2_f32_f16 v197, v20, v51, v197
	;; [unrolled: 1-line block ×3, first 2 shown]
	v_mov_b32_dpp v13, v13 dpp8:[7,7,7,7,7,7,7,7]
	v_dot2_f32_f16 v166, v219, v112, v166
	v_mov_b32_dpp v222, v222 dpp8:[3,3,3,3,3,3,3,3]
	v_mov_b32_dpp v224, v224 dpp8:[5,5,5,5,5,5,5,5]
	;; [unrolled: 1-line block ×4, first 2 shown]
	s_wait_dscnt 0x8
	v_dot2_f32_f16 v118, v227, v110, v167
	v_dot2_f32_f16 v167, v228, v110, v170
	;; [unrolled: 1-line block ×3, first 2 shown]
	v_mov_b32_e32 v171, v15
	v_dot2_f32_f16 v17, v20, v52, v17
	v_dot2_f32_f16 v18, v231, v50, v18
	;; [unrolled: 1-line block ×12, first 2 shown]
	v_mov_b32_e32 v166, v15
	v_mov_b32_dpp v171, v171 dpp8:[6,6,6,6,6,6,6,6]
	v_dot2_f32_f16 v13, v13, v50, v17
	v_dot2_f32_f16 v17, v219, v113, v18
	;; [unrolled: 1-line block ×8, first 2 shown]
	v_mov_b32_dpp v14, v14 dpp8:[7,7,7,7,7,7,7,7]
	v_dot2_f32_f16 v195, v224, v112, v195
	v_dot2_f32_f16 v196, v171, v110, v196
	v_mov_b32_dpp v229, v229 dpp8:[3,3,3,3,3,3,3,3]
	v_dot2_f32_f16 v27, v171, v111, v27
	v_mov_b32_e32 v171, v29
	v_mov_b32_dpp v166, v166 dpp8:[5,5,5,5,5,5,5,5]
	v_dot2_f32_f16 v197, v14, v112, v197
	v_dual_mov_b32 v230, v16 :: v_dual_mov_b32 v141, v30
	v_mov_b32_dpp v15, v15 dpp8:[7,7,7,7,7,7,7,7]
	s_delay_alu instid0(VALU_DEP_4)
	v_dot2_f32_f16 v0, v166, v110, v195
	v_mov_b32_e32 v195, v16
	v_dot2_f32_f16 v13, v14, v113, v13
	v_mov_b32_dpp v230, v230 dpp8:[0,0,0,0,0,0,0,0]
	v_dot2_f32_f16 v197, v15, v110, v197
	v_mov_b32_dpp v127, v127 dpp8:[5,5,5,5,5,5,5,5]
	v_mov_b32_dpp v195, v195 dpp8:[2,2,2,2,2,2,2,2]
	;; [unrolled: 1-line block ×3, first 2 shown]
	v_dot2_f32_f16 v14, v226, v111, v17
	v_dot2_f32_f16 v17, v227, v111, v18
	;; [unrolled: 1-line block ×7, first 2 shown]
	v_mov_b32_e32 v153, v30
	v_mov_b32_dpp v234, v234 dpp8:[3,3,3,3,3,3,3,3]
	v_mov_b32_e32 v165, v30
	v_mov_b32_dpp v236, v236 dpp8:[6,6,6,6,6,6,6,6]
	s_wait_dscnt 0x7
	v_dot2_f32_f16 v114, v127, v108, v0
	v_dot2_f32_f16 v0, v16, v108, v197
	;; [unrolled: 1-line block ×10, first 2 shown]
	s_clause 0x7
	scratch_load_b32 v16, off, off offset:120 th:TH_LOAD_LU
	scratch_load_b32 v26, off, off offset:116 th:TH_LOAD_LU
	;; [unrolled: 1-line block ×8, first 2 shown]
	v_dot2_f32_f16 v148, v152, v66, v148
	v_dual_mov_b32 v140, v29 :: v_dual_mov_b32 v173, v31
	v_dual_mov_b32 v152, v29 :: v_dual_mov_b32 v143, v31
	s_delay_alu instid0(VALU_DEP_3) | instskip(SKIP_3) | instid1(VALU_DEP_4)
	v_dot2_f32_f16 v148, v159, v63, v148
	v_dual_mov_b32 v180, v29 :: v_dual_mov_b32 v179, v31
	v_dual_mov_b32 v164, v29 :: v_dual_mov_b32 v155, v31
	;; [unrolled: 1-line block ×3, first 2 shown]
	v_dot2_f32_f16 v148, v168, v61, v148
	v_mov_b32_dpp v140, v140 dpp8:[0,0,0,0,0,0,0,0]
	v_mov_b32_dpp v152, v152 dpp8:[1,1,1,1,1,1,1,1]
	;; [unrolled: 1-line block ×8, first 2 shown]
	v_dual_mov_b32 v176, v30 :: v_dual_mov_b32 v131, v32
	v_mov_b32_e32 v178, v30
	s_wait_dscnt 0x6
	v_dual_mov_b32 v142, v30 :: v_dual_mov_b32 v157, v41
	v_mov_b32_e32 v154, v30
	v_dot2_f32_f16 v148, v177, v59, v148
	v_dot2_f32_f16 v117, v195, v108, v167
	v_mov_b32_dpp v176, v176 dpp8:[0,0,0,0,0,0,0,0]
	v_mov_b32_dpp v141, v141 dpp8:[1,1,1,1,1,1,1,1]
	;; [unrolled: 1-line block ×6, first 2 shown]
	v_dual_mov_b32 v122, v31 :: v_dual_mov_b32 v123, v41
	v_dual_mov_b32 v174, v31 :: v_dual_mov_b32 v133, v42
	;; [unrolled: 1-line block ×3, first 2 shown]
	v_mov_b32_e32 v177, v32
	v_mov_b32_dpp v178, v178 dpp8:[2,2,2,2,2,2,2,2]
	v_mov_b32_e32 v167, v41
	v_mov_b32_dpp v154, v154 dpp8:[5,5,5,5,5,5,5,5]
	v_mov_b32_dpp v173, v173 dpp8:[0,0,0,0,0,0,0,0]
	;; [unrolled: 1-line block ×9, first 2 shown]
	v_dual_mov_b32 v156, v32 :: v_dual_mov_b32 v159, v42
	v_dual_mov_b32 v166, v32 :: v_dual_mov_b32 v125, v43
	;; [unrolled: 1-line block ×3, first 2 shown]
	s_delay_alu instid0(VALU_DEP_3) | instskip(NEXT) | instid1(VALU_DEP_3)
	v_mov_b32_dpp v156, v156 dpp8:[0,0,0,0,0,0,0,0]
	v_mov_b32_dpp v166, v166 dpp8:[2,2,2,2,2,2,2,2]
	;; [unrolled: 1-line block ×6, first 2 shown]
	v_dual_mov_b32 v169, v42 :: v_dual_mov_b32 v144, v41
	v_dual_mov_b32 v147, v43 :: v_dual_mov_b32 v158, v41
	;; [unrolled: 1-line block ×3, first 2 shown]
	s_wait_dscnt 0x5
	v_mov_b32_e32 v149, v1
	v_mov_b32_dpp v144, v144 dpp8:[0,0,0,0,0,0,0,0]
	v_mov_b32_dpp v157, v157 dpp8:[1,1,1,1,1,1,1,1]
	;; [unrolled: 1-line block ×6, first 2 shown]
	v_dual_mov_b32 v137, v44 :: v_dual_mov_b32 v134, v42
	v_mov_b32_e32 v161, v1
	v_mov_b32_e32 v139, v2
	v_dot2_f32_f16 v148, v184, v57, v148
	v_mov_b32_dpp v147, v147 dpp8:[4,4,4,4,4,4,4,4]
	v_mov_b32_dpp v134, v134 dpp8:[2,2,2,2,2,2,2,2]
	v_mov_b32_e32 v136, v44
	v_dot2_f32_f16 v115, v235, v108, v170
	v_dot2_f32_f16 v148, v191, v55, v148
	v_mov_b32_dpp v125, v125 dpp8:[2,2,2,2,2,2,2,2]
	v_mov_b32_e32 v170, v44
	v_mov_b32_dpp v136, v136 dpp8:[4,4,4,4,4,4,4,4]
	v_mov_b32_e32 v128, v1
	v_dot2_f32_f16 v148, v201, v53, v148
	v_mov_b32_dpp v161, v161 dpp8:[2,2,2,2,2,2,2,2]
	v_mov_b32_dpp v170, v170 dpp8:[2,2,2,2,2,2,2,2]
	;; [unrolled: 1-line block ×4, first 2 shown]
	v_dot2_f32_f16 v148, v209, v51, v148
	v_mov_b32_e32 v160, v43
	v_dual_mov_b32 v146, v42 :: v_dual_mov_b32 v129, v1
	v_mov_b32_dpp v137, v137 dpp8:[6,6,6,6,6,6,6,6]
	s_delay_alu instid0(VALU_DEP_4)
	v_dot2_f32_f16 v148, v215, v49, v148
	v_mov_b32_e32 v138, v1
	v_mov_b32_dpp v133, v133 dpp8:[0,0,0,0,0,0,0,0]
	v_mov_b32_dpp v145, v145 dpp8:[1,1,1,1,1,1,1,1]
	v_mov_b32_dpp v146, v146 dpp8:[3,3,3,3,3,3,3,3]
	v_dot2_f32_f16 v148, v222, v112, v148
	v_mov_b32_dpp v159, v159 dpp8:[5,5,5,5,5,5,5,5]
	v_mov_b32_e32 v124, v43
	v_mov_b32_dpp v138, v138 dpp8:[6,6,6,6,6,6,6,6]
	v_mov_b32_e32 v120, v2
	v_dot2_f32_f16 v148, v229, v110, v148
	v_mov_b32_dpp v135, v135 dpp8:[3,3,3,3,3,3,3,3]
	v_mov_b32_e32 v126, v44
	v_mov_b32_dpp v127, v127 dpp8:[5,5,5,5,5,5,5,5]
	v_mov_b32_dpp v120, v120 dpp8:[6,6,6,6,6,6,6,6]
	v_dot2_f32_f16 v116, v234, v108, v148
	v_mov_b32_e32 v148, v43
	v_mov_b32_dpp v126, v126 dpp8:[3,3,3,3,3,3,3,3]
	v_mov_b32_dpp v149, v149 dpp8:[0,0,0,0,0,0,0,0]
	;; [unrolled: 1-line block ×5, first 2 shown]
	s_wait_dscnt 0x3
	v_dual_mov_b32 v162, v2 :: v_dual_mov_b32 v223, v11
	v_mov_b32_e32 v225, v11
	v_dot2_f32_f16 v65, v236, v108, v196
	v_mov_b32_e32 v227, v11
	s_delay_alu instid0(VALU_DEP_4)
	v_mov_b32_dpp v162, v162 dpp8:[5,5,5,5,5,5,5,5]
	v_dual_mov_b32 v229, v12 :: v_dual_mov_b32 v222, v11
	v_mov_b32_e32 v224, v11
	v_mov_b32_e32 v226, v11
	v_mov_b32_dpp v223, v223 dpp8:[1,1,1,1,1,1,1,1]
	v_mov_b32_dpp v225, v225 dpp8:[4,4,4,4,4,4,4,4]
	;; [unrolled: 1-line block ×6, first 2 shown]
	v_mov_b32_e32 v228, v12
	v_mov_b32_dpp v229, v229 dpp8:[3,3,3,3,3,3,3,3]
	v_dot2_f32_f16 v119, v230, v108, v119
	v_cvt_f16_f32_e32 v20, v20
	v_dot2_f32_f16 v118, v233, v108, v118
	v_mov_b32_dpp v228, v228 dpp8:[0,0,0,0,0,0,0,0]
	v_cvt_f16_f32_e32 v14, v14
	v_cvt_f16_f32_e32 v13, v13
	;; [unrolled: 1-line block ×3, first 2 shown]
	s_wait_loadcnt 0x7
	v_dot2_f32_f16 v16, v140, v106, v16
	s_wait_loadcnt 0x6
	v_dot2_f32_f16 v26, v152, v106, v26
	;; [unrolled: 2-line block ×8, first 2 shown]
	v_dot2_f32_f16 v16, v176, v104, v16
	v_dot2_f32_f16 v26, v141, v104, v26
	;; [unrolled: 1-line block ×8, first 2 shown]
	v_mov_b32_e32 v104, v32
	v_dot2_f32_f16 v16, v173, v102, v16
	v_dot2_f32_f16 v26, v122, v102, v26
	;; [unrolled: 1-line block ×8, first 2 shown]
	v_mov_b32_dpp v104, v104 dpp8:[1,1,1,1,1,1,1,1]
	v_mov_b32_dpp v32, v32 dpp8:[7,7,7,7,7,7,7,7]
	v_dot2_f32_f16 v16, v156, v100, v16
	v_dot2_f32_f16 v27, v166, v100, v27
	;; [unrolled: 1-line block ×8, first 2 shown]
	v_mov_b32_e32 v100, v41
	v_mov_b32_dpp v41, v41 dpp8:[7,7,7,7,7,7,7,7]
	v_dot2_f32_f16 v16, v144, v98, v16
	v_dot2_f32_f16 v26, v157, v98, v26
	;; [unrolled: 1-line block ×3, first 2 shown]
	v_mov_b32_dpp v100, v100 dpp8:[4,4,4,4,4,4,4,4]
	v_dot2_f32_f16 v28, v167, v98, v28
	v_dot2_f32_f16 v34, v168, v98, v34
	;; [unrolled: 1-line block ×5, first 2 shown]
	v_mov_b32_e32 v98, v42
	v_dot2_f32_f16 v27, v134, v96, v27
	v_mov_b32_e32 v102, v43
	v_dot2_f32_f16 v35, v169, v96, v35
	v_mov_b32_dpp v42, v42 dpp8:[7,7,7,7,7,7,7,7]
	v_mov_b32_dpp v98, v98 dpp8:[4,4,4,4,4,4,4,4]
	v_dot2_f32_f16 v27, v125, v94, v27
	v_dot2_f32_f16 v16, v133, v96, v16
	;; [unrolled: 1-line block ×8, first 2 shown]
	v_mov_b32_dpp v43, v43 dpp8:[7,7,7,7,7,7,7,7]
	v_dot2_f32_f16 v33, v147, v94, v33
	v_dot2_f32_f16 v27, v161, v90, v27
	v_mov_b32_e32 v96, v44
	v_mov_b32_e32 v106, v44
	v_dot2_f32_f16 v28, v135, v94, v28
	v_dot2_f32_f16 v33, v136, v92, v33
	;; [unrolled: 1-line block ×4, first 2 shown]
	v_mov_b32_dpp v106, v106 dpp8:[1,1,1,1,1,1,1,1]
	v_mov_b32_dpp v44, v44 dpp8:[7,7,7,7,7,7,7,7]
	v_dot2_f32_f16 v150, v128, v90, v33
	v_mov_b32_e32 v33, v2
	v_mov_b32_dpp v102, v102 dpp8:[0,0,0,0,0,0,0,0]
	v_dot2_f32_f16 v28, v126, v92, v28
	v_dot2_f32_f16 v34, v127, v92, v34
	v_dot2_f32_f16 v36, v44, v92, v36
	v_mov_b32_dpp v33, v33 dpp8:[2,2,2,2,2,2,2,2]
	v_dot2_f32_f16 v16, v102, v94, v16
	v_dot2_f32_f16 v163, v163, v107, v241
	;; [unrolled: 1-line block ×5, first 2 shown]
	v_mov_b32_e32 v27, v3
	v_mov_b32_dpp v160, v160 dpp8:[6,6,6,6,6,6,6,6]
	v_dot2_f32_f16 v185, v162, v88, v34
	v_mov_b32_e32 v34, v3
	v_dot2_f32_f16 v142, v142, v105, v163
	v_mov_b32_dpp v27, v27 dpp8:[2,2,2,2,2,2,2,2]
	v_dot2_f32_f16 v35, v160, v94, v35
	s_wait_dscnt 0x2
	v_mov_b32_e32 v163, v21
	v_mov_b32_dpp v34, v34 dpp8:[3,3,3,3,3,3,3,3]
	v_dot2_f32_f16 v152, v152, v107, v243
	v_dot2_f32_f16 v190, v27, v86, v182
	;; [unrolled: 1-line block ×3, first 2 shown]
	v_mov_b32_e32 v182, v4
	v_dot2_f32_f16 v153, v153, v105, v171
	v_mov_b32_e32 v171, v21
	v_dot2_f32_f16 v141, v141, v105, v152
	v_dot2_f32_f16 v151, v138, v90, v35
	v_mov_b32_e32 v35, v2
	v_mov_b32_dpp v124, v124 dpp8:[1,1,1,1,1,1,1,1]
	v_mov_b32_dpp v182, v182 dpp8:[4,4,4,4,4,4,4,4]
	v_dot2_f32_f16 v122, v122, v103, v141
	v_dot2_f32_f16 v186, v120, v88, v151
	v_mov_b32_e32 v151, v4
	v_dot2_f32_f16 v26, v124, v94, v26
	v_mov_b32_dpp v96, v96 dpp8:[0,0,0,0,0,0,0,0]
	v_mov_b32_e32 v94, v1
	v_mov_b32_dpp v35, v35 dpp8:[3,3,3,3,3,3,3,3]
	v_mov_b32_dpp v151, v151 dpp8:[1,1,1,1,1,1,1,1]
	v_dot2_f32_f16 v26, v106, v92, v26
	v_dot2_f32_f16 v16, v96, v92, v16
	v_mov_b32_e32 v92, v1
	v_mov_b32_dpp v94, v94 dpp8:[1,1,1,1,1,1,1,1]
	v_mov_b32_dpp v1, v1 dpp8:[7,7,7,7,7,7,7,7]
	v_mov_b32_e32 v141, v22
	v_dot2_f32_f16 v16, v149, v90, v16
	v_mov_b32_dpp v92, v92 dpp8:[3,3,3,3,3,3,3,3]
	v_dot2_f32_f16 v26, v94, v90, v26
	v_dot2_f32_f16 v36, v1, v90, v36
	;; [unrolled: 1-line block ×5, first 2 shown]
	v_mov_b32_e32 v28, v2
	v_mov_b32_e32 v90, v2
	v_mov_b32_dpp v2, v2 dpp8:[7,7,7,7,7,7,7,7]
	v_dot2_f32_f16 v164, v164, v107, v239
	v_dot2_f32_f16 v183, v35, v88, v121
	v_mov_b32_e32 v121, v3
	v_mov_b32_dpp v28, v28 dpp8:[1,1,1,1,1,1,1,1]
	v_mov_b32_dpp v90, v90 dpp8:[4,4,4,4,4,4,4,4]
	v_dot2_f32_f16 v187, v2, v88, v36
	v_mov_b32_e32 v36, v3
	v_mov_b32_dpp v121, v121 dpp8:[0,0,0,0,0,0,0,0]
	v_dot2_f32_f16 v181, v28, v88, v26
	v_dot2_f32_f16 v184, v90, v88, v150
	v_mov_b32_e32 v26, v3
	v_mov_b32_e32 v150, v3
	v_dot2_f32_f16 v188, v121, v86, v16
	v_mov_b32_e32 v16, v3
	v_mov_b32_dpp v36, v36 dpp8:[4,4,4,4,4,4,4,4]
	v_mov_b32_dpp v26, v26 dpp8:[1,1,1,1,1,1,1,1]
	;; [unrolled: 1-line block ×5, first 2 shown]
	v_dot2_f32_f16 v191, v34, v86, v183
	v_dot2_f32_f16 v189, v26, v86, v181
	;; [unrolled: 1-line block ×3, first 2 shown]
	v_mov_b32_e32 v88, v4
	v_dot2_f32_f16 v193, v150, v86, v185
	v_dot2_f32_f16 v194, v16, v86, v186
	;; [unrolled: 1-line block ×3, first 2 shown]
	v_dual_mov_b32 v86, v4 :: v_dual_mov_b32 v181, v4
	v_dual_mov_b32 v183, v4 :: v_dual_mov_b32 v184, v4
	v_mov_b32_dpp v4, v4 dpp8:[7,7,7,7,7,7,7,7]
	v_mov_b32_e32 v186, v5
	s_delay_alu instid0(VALU_DEP_4)
	v_mov_b32_dpp v181, v181 dpp8:[3,3,3,3,3,3,3,3]
	v_mov_b32_dpp v88, v88 dpp8:[0,0,0,0,0,0,0,0]
	v_dot2_f32_f16 v189, v151, v84, v189
	v_dot2_f32_f16 v197, v4, v84, v187
	v_mov_b32_e32 v187, v5
	v_mov_b32_dpp v86, v86 dpp8:[2,2,2,2,2,2,2,2]
	v_dot2_f32_f16 v191, v181, v84, v191
	v_mov_b32_dpp v183, v183 dpp8:[5,5,5,5,5,5,5,5]
	v_mov_b32_dpp v184, v184 dpp8:[6,6,6,6,6,6,6,6]
	v_mov_b32_e32 v185, v5
	v_mov_b32_dpp v186, v186 dpp8:[1,1,1,1,1,1,1,1]
	v_mov_b32_dpp v187, v187 dpp8:[3,3,3,3,3,3,3,3]
	v_dot2_f32_f16 v195, v88, v84, v188
	v_dot2_f32_f16 v196, v86, v84, v190
	;; [unrolled: 1-line block ×5, first 2 shown]
	v_mov_b32_dpp v185, v185 dpp8:[0,0,0,0,0,0,0,0]
	v_mov_b32_e32 v84, v5
	v_mov_b32_e32 v188, v5
	v_dot2_f32_f16 v198, v186, v82, v189
	v_dual_mov_b32 v189, v5 :: v_dual_mov_b32 v190, v5
	v_dot2_f32_f16 v200, v187, v82, v191
	v_mov_b32_e32 v191, v6
	v_dot2_f32_f16 v195, v185, v82, v195
	v_mov_b32_dpp v84, v84 dpp8:[2,2,2,2,2,2,2,2]
	v_mov_b32_dpp v188, v188 dpp8:[4,4,4,4,4,4,4,4]
	;; [unrolled: 1-line block ×6, first 2 shown]
	v_dot2_f32_f16 v199, v84, v82, v196
	v_dot2_f32_f16 v201, v188, v82, v192
	v_mov_b32_e32 v192, v6
	v_dot2_f32_f16 v202, v189, v82, v193
	v_dot2_f32_f16 v203, v190, v82, v194
	;; [unrolled: 1-line block ×3, first 2 shown]
	v_dual_mov_b32 v82, v6 :: v_dual_mov_b32 v193, v6
	v_mov_b32_e32 v194, v6
	v_dot2_f32_f16 v205, v191, v80, v195
	v_dual_mov_b32 v195, v6 :: v_dual_mov_b32 v196, v6
	v_mov_b32_dpp v192, v192 dpp8:[1,1,1,1,1,1,1,1]
	v_mov_b32_dpp v82, v82 dpp8:[2,2,2,2,2,2,2,2]
	;; [unrolled: 1-line block ×7, first 2 shown]
	v_dot2_f32_f16 v206, v192, v80, v198
	v_dot2_f32_f16 v207, v82, v80, v199
	;; [unrolled: 1-line block ×4, first 2 shown]
	v_dual_mov_b32 v197, v7 :: v_dual_mov_b32 v198, v7
	v_dot2_f32_f16 v210, v195, v80, v202
	v_dot2_f32_f16 v211, v196, v80, v203
	;; [unrolled: 1-line block ×3, first 2 shown]
	v_dual_mov_b32 v80, v7 :: v_dual_mov_b32 v199, v7
	v_dual_mov_b32 v200, v7 :: v_dual_mov_b32 v201, v7
	v_mov_b32_e32 v202, v7
	v_mov_b32_dpp v197, v197 dpp8:[0,0,0,0,0,0,0,0]
	v_mov_b32_dpp v198, v198 dpp8:[1,1,1,1,1,1,1,1]
	;; [unrolled: 1-line block ×8, first 2 shown]
	v_dot2_f32_f16 v213, v197, v78, v205
	v_dot2_f32_f16 v214, v198, v78, v206
	;; [unrolled: 1-line block ×5, first 2 shown]
	v_mov_b32_e32 v203, v8
	v_dot2_f32_f16 v217, v201, v78, v210
	v_mov_b32_e32 v204, v8
	v_dot2_f32_f16 v211, v202, v78, v211
	v_dot2_f32_f16 v212, v7, v78, v212
	v_dual_mov_b32 v78, v8 :: v_dual_mov_b32 v205, v8
	v_dual_mov_b32 v206, v8 :: v_dual_mov_b32 v207, v8
	v_mov_b32_e32 v208, v8
	v_mov_b32_dpp v8, v8 dpp8:[7,7,7,7,7,7,7,7]
	v_mov_b32_dpp v203, v203 dpp8:[0,0,0,0,0,0,0,0]
	;; [unrolled: 1-line block ×5, first 2 shown]
	v_dot2_f32_f16 v220, v8, v76, v212
	v_dot2_f32_f16 v212, v29, v107, v237
	v_mov_b32_dpp v206, v206 dpp8:[4,4,4,4,4,4,4,4]
	v_mov_b32_dpp v207, v207 dpp8:[5,5,5,5,5,5,5,5]
	;; [unrolled: 1-line block ×3, first 2 shown]
	v_mov_b32_e32 v210, v9
	v_dot2_f32_f16 v212, v30, v105, v212
	v_dot2_f32_f16 v213, v203, v76, v213
	;; [unrolled: 1-line block ×7, first 2 shown]
	v_mov_b32_e32 v209, v9
	v_dot2_f32_f16 v217, v207, v76, v217
	v_dot2_f32_f16 v219, v208, v76, v211
	;; [unrolled: 1-line block ×3, first 2 shown]
	v_mov_b32_dpp v210, v210 dpp8:[1,1,1,1,1,1,1,1]
	v_dual_mov_b32 v76, v9 :: v_dual_mov_b32 v211, v9
	v_mov_b32_e32 v29, v9
	s_delay_alu instid0(VALU_DEP_4) | instskip(SKIP_3) | instid1(VALU_DEP_4)
	v_dot2_f32_f16 v32, v41, v99, v32
	v_dual_mov_b32 v30, v9 :: v_dual_mov_b32 v31, v9
	v_mov_b32_e32 v41, v10
	v_mov_b32_dpp v209, v209 dpp8:[0,0,0,0,0,0,0,0]
	v_dot2_f32_f16 v32, v42, v97, v32
	v_dot2_f32_f16 v214, v210, v74, v214
	v_mov_b32_dpp v76, v76 dpp8:[2,2,2,2,2,2,2,2]
	v_mov_b32_dpp v211, v211 dpp8:[3,3,3,3,3,3,3,3]
	;; [unrolled: 1-line block ×7, first 2 shown]
	v_dot2_f32_f16 v32, v43, v95, v32
	v_dot2_f32_f16 v213, v209, v74, v213
	;; [unrolled: 1-line block ×5, first 2 shown]
	v_mov_b32_e32 v212, v10
	v_dot2_f32_f16 v217, v30, v74, v217
	v_dot2_f32_f16 v219, v31, v74, v219
	;; [unrolled: 1-line block ×3, first 2 shown]
	v_mov_b32_e32 v42, v10
	v_dual_mov_b32 v220, v10 :: v_dual_mov_b32 v221, v10
	v_dot2_f32_f16 v43, v41, v72, v214
	v_dot2_f32_f16 v32, v44, v93, v32
	v_mov_b32_e32 v44, v10
	v_mov_b32_e32 v214, v10
	v_mov_b32_dpp v212, v212 dpp8:[0,0,0,0,0,0,0,0]
	v_mov_b32_dpp v42, v42 dpp8:[2,2,2,2,2,2,2,2]
	;; [unrolled: 1-line block ×7, first 2 shown]
	v_dot2_f32_f16 v213, v212, v72, v213
	v_dot2_f32_f16 v215, v42, v72, v215
	v_dot2_f32_f16 v216, v220, v72, v216
	v_dot2_f32_f16 v218, v221, v72, v218
	v_dot2_f32_f16 v217, v44, v72, v217
	v_dot2_f32_f16 v219, v214, v72, v219
	v_dot2_f32_f16 v72, v10, v72, v74
	v_dot2_f32_f16 v74, v140, v107, v244
	v_mov_b32_e32 v140, v11
	v_mov_b32_dpp v11, v11 dpp8:[7,7,7,7,7,7,7,7]
	v_dot2_f32_f16 v213, v222, v70, v213
	v_dot2_f32_f16 v43, v223, v70, v43
	;; [unrolled: 1-line block ×3, first 2 shown]
	v_mov_b32_dpp v140, v140 dpp8:[2,2,2,2,2,2,2,2]
	v_dot2_f32_f16 v218, v225, v70, v218
	v_dot2_f32_f16 v107, v172, v107, v238
	v_mov_b32_e32 v172, v12
	v_dot2_f32_f16 v217, v226, v70, v217
	v_dot2_f32_f16 v215, v140, v70, v215
	;; [unrolled: 1-line block ×4, first 2 shown]
	v_mov_b32_e32 v72, v12
	v_dot2_f32_f16 v74, v176, v105, v74
	v_mov_b32_e32 v176, v12
	v_mov_b32_e32 v152, v12
	v_dot2_f32_f16 v178, v178, v105, v180
	v_mov_b32_e32 v180, v12
	v_mov_b32_dpp v172, v172 dpp8:[1,1,1,1,1,1,1,1]
	v_mov_b32_dpp v72, v72 dpp8:[2,2,2,2,2,2,2,2]
	;; [unrolled: 1-line block ×6, first 2 shown]
	v_dot2_f32_f16 v213, v228, v68, v213
	v_dot2_f32_f16 v43, v172, v68, v43
	;; [unrolled: 1-line block ×8, first 2 shown]
	v_mov_b32_dpp v163, v163 dpp8:[0,0,0,0,0,0,0,0]
	v_dot2_f32_f16 v70, v154, v105, v164
	v_mov_b32_e32 v154, v21
	v_dot2_f32_f16 v105, v165, v105, v107
	v_dual_mov_b32 v107, v21 :: v_dual_mov_b32 v164, v21
	v_dot2_f32_f16 v165, v163, v66, v213
	v_mov_b32_e32 v213, v21
	v_dot2_f32_f16 v74, v173, v103, v74
	v_mov_b32_e32 v173, v21
	v_dot2_f32_f16 v70, v179, v103, v70
	v_mov_b32_dpp v171, v171 dpp8:[1,1,1,1,1,1,1,1]
	v_mov_b32_dpp v154, v154 dpp8:[2,2,2,2,2,2,2,2]
	;; [unrolled: 1-line block ×7, first 2 shown]
	v_dot2_f32_f16 v70, v177, v101, v70
	v_dot2_f32_f16 v43, v171, v66, v43
	;; [unrolled: 1-line block ×11, first 2 shown]
	v_mov_b32_e32 v178, v22
	v_mov_b32_e32 v130, v22
	v_dot2_f32_f16 v68, v175, v101, v68
	v_dot2_f32_f16 v70, v159, v97, v70
	;; [unrolled: 1-line block ×3, first 2 shown]
	v_mov_b32_e32 v143, v22
	v_mov_b32_e32 v153, v22
	v_dot2_f32_f16 v68, v167, v99, v68
	v_dot2_f32_f16 v70, v148, v95, v70
	;; [unrolled: 1-line block ×3, first 2 shown]
	v_mov_b32_e32 v105, v22
	v_mov_b32_e32 v155, v22
	v_dot2_f32_f16 v68, v146, v97, v68
	v_dot2_f32_f16 v70, v127, v93, v70
	v_mov_b32_dpp v141, v141 dpp8:[0,0,0,0,0,0,0,0]
	v_mov_b32_dpp v178, v178 dpp8:[1,1,1,1,1,1,1,1]
	;; [unrolled: 1-line block ×7, first 2 shown]
	v_dot2_f32_f16 v68, v135, v95, v68
	v_dot2_f32_f16 v70, v129, v91, v70
	s_wait_dscnt 0x0
	v_mov_b32_e32 v129, v46
	v_mov_b32_dpp v130, v130 dpp8:[2,2,2,2,2,2,2,2]
	v_dot2_f32_f16 v165, v141, v63, v165
	v_dot2_f32_f16 v43, v178, v63, v43
	;; [unrolled: 1-line block ×3, first 2 shown]
	v_mov_b32_e32 v156, v23
	v_dot2_f32_f16 v179, v130, v63, v215
	v_dot2_f32_f16 v215, v143, v63, v216
	;; [unrolled: 1-line block ×3, first 2 shown]
	v_mov_b32_e32 v218, v23
	v_dot2_f32_f16 v217, v105, v63, v217
	v_dot2_f32_f16 v219, v155, v63, v219
	;; [unrolled: 1-line block ×4, first 2 shown]
	v_mov_b32_e32 v104, v23
	v_dot2_f32_f16 v122, v166, v101, v174
	v_mov_b32_e32 v166, v23
	v_mov_b32_e32 v174, v23
	v_dot2_f32_f16 v131, v131, v101, v142
	v_dual_mov_b32 v142, v23 :: v_dual_mov_b32 v175, v23
	v_dot2_f32_f16 v68, v126, v93, v68
	v_mov_b32_dpp v218, v218 dpp8:[0,0,0,0,0,0,0,0]
	v_mov_b32_dpp v156, v156 dpp8:[1,1,1,1,1,1,1,1]
	;; [unrolled: 1-line block ×8, first 2 shown]
	v_dot2_f32_f16 v68, v92, v91, v68
	v_dot2_f32_f16 v165, v218, v61, v165
	;; [unrolled: 1-line block ×7, first 2 shown]
	v_dual_mov_b32 v103, v24 :: v_dual_mov_b32 v132, v24
	v_dot2_f32_f16 v216, v142, v61, v217
	v_dot2_f32_f16 v217, v175, v61, v219
	;; [unrolled: 1-line block ×3, first 2 shown]
	v_mov_b32_e32 v63, v24
	v_dot2_f32_f16 v74, v144, v99, v74
	v_mov_b32_e32 v144, v24
	v_dot2_f32_f16 v66, v157, v99, v66
	;; [unrolled: 2-line block ×3, first 2 shown]
	v_dual_mov_b32 v158, v24 :: v_dual_mov_b32 v167, v24
	v_dot2_f32_f16 v35, v35, v89, v68
	v_mov_b32_dpp v103, v103 dpp8:[0,0,0,0,0,0,0,0]
	v_mov_b32_dpp v132, v132 dpp8:[1,1,1,1,1,1,1,1]
	;; [unrolled: 1-line block ×7, first 2 shown]
	v_dot2_f32_f16 v100, v100, v99, v131
	v_mov_b32_e32 v131, v37
	v_dot2_f32_f16 v34, v34, v87, v35
	v_mov_b32_e32 v35, v48
	v_mov_b32_dpp v144, v144 dpp8:[3,3,3,3,3,3,3,3]
	v_dot2_f32_f16 v165, v103, v59, v165
	v_dot2_f32_f16 v43, v132, v59, v43
	;; [unrolled: 1-line block ×5, first 2 shown]
	v_mov_b32_e32 v168, v37
	v_dot2_f32_f16 v216, v158, v59, v216
	v_dot2_f32_f16 v217, v167, v59, v217
	;; [unrolled: 1-line block ×3, first 2 shown]
	v_mov_b32_dpp v131, v131 dpp8:[0,0,0,0,0,0,0,0]
	v_dot2_f32_f16 v61, v123, v99, v101
	v_mov_b32_e32 v99, v37
	v_mov_b32_e32 v101, v37
	;; [unrolled: 1-line block ×3, first 2 shown]
	v_dot2_f32_f16 v74, v133, v97, v74
	v_mov_b32_e32 v133, v37
	v_dot2_f32_f16 v66, v145, v97, v66
	v_mov_b32_e32 v145, v37
	;; [unrolled: 2-line block ×3, first 2 shown]
	v_mov_b32_dpp v168, v168 dpp8:[1,1,1,1,1,1,1,1]
	v_dot2_f32_f16 v165, v131, v57, v165
	v_mov_b32_dpp v99, v99 dpp8:[2,2,2,2,2,2,2,2]
	v_mov_b32_dpp v101, v101 dpp8:[3,3,3,3,3,3,3,3]
	v_mov_b32_dpp v123, v123 dpp8:[4,4,4,4,4,4,4,4]
	v_mov_b32_dpp v133, v133 dpp8:[5,5,5,5,5,5,5,5]
	v_mov_b32_dpp v145, v145 dpp8:[6,6,6,6,6,6,6,6]
	v_mov_b32_dpp v37, v37 dpp8:[7,7,7,7,7,7,7,7]
	v_mov_b32_dpp v134, v134 dpp8:[0,0,0,0,0,0,0,0]
	v_dot2_f32_f16 v43, v168, v57, v43
	v_dot2_f32_f16 v177, v99, v57, v177
	;; [unrolled: 1-line block ×4, first 2 shown]
	v_mov_b32_e32 v146, v38
	v_dot2_f32_f16 v216, v133, v57, v216
	v_dot2_f32_f16 v217, v145, v57, v217
	;; [unrolled: 1-line block ×4, first 2 shown]
	v_mov_b32_e32 v98, v38
	v_mov_b32_e32 v100, v38
	v_dot2_f32_f16 v61, v169, v97, v61
	v_mov_b32_e32 v97, v38
	v_dot2_f32_f16 v159, v134, v55, v165
	v_mov_b32_e32 v165, v38
	v_mov_b32_e32 v169, v38
	v_mov_b32_dpp v146, v146 dpp8:[1,1,1,1,1,1,1,1]
	v_mov_b32_dpp v98, v98 dpp8:[2,2,2,2,2,2,2,2]
	;; [unrolled: 1-line block ×7, first 2 shown]
	v_dot2_f32_f16 v43, v146, v55, v43
	v_dot2_f32_f16 v177, v98, v55, v177
	;; [unrolled: 1-line block ×5, first 2 shown]
	v_mov_b32_e32 v102, v39
	v_dot2_f32_f16 v66, v124, v95, v66
	v_mov_b32_e32 v124, v39
	v_dot2_f32_f16 v216, v165, v55, v216
	v_dot2_f32_f16 v217, v169, v55, v217
	;; [unrolled: 1-line block ×4, first 2 shown]
	v_dual_mov_b32 v122, v39 :: v_dual_mov_b32 v125, v39
	v_dot2_f32_f16 v59, v147, v95, v59
	v_dual_mov_b32 v135, v39 :: v_dual_mov_b32 v148, v39
	v_dot2_f32_f16 v61, v160, v95, v61
	v_mov_b32_e32 v95, v39
	v_mov_b32_dpp v102, v102 dpp8:[0,0,0,0,0,0,0,0]
	v_mov_b32_dpp v124, v124 dpp8:[1,1,1,1,1,1,1,1]
	;; [unrolled: 1-line block ×8, first 2 shown]
	v_dot2_f32_f16 v147, v102, v53, v159
	v_dot2_f32_f16 v43, v124, v53, v43
	;; [unrolled: 1-line block ×27, first 2 shown]
	v_mov_b32_e32 v179, v40
	v_mov_b32_e32 v215, v40
	v_dot2_f32_f16 v16, v16, v87, v61
	v_dot2_f32_f16 v3, v3, v87, v89
	;; [unrolled: 1-line block ×3, first 2 shown]
	v_mov_b32_e32 v74, v40
	v_mov_b32_e32 v96, v40
	;; [unrolled: 1-line block ×3, first 2 shown]
	v_dot2_f32_f16 v3, v4, v85, v3
	v_dot2_f32_f16 v4, v185, v83, v55
	v_mov_b32_e32 v126, v40
	v_mov_b32_e32 v136, v40
	v_dot2_f32_f16 v16, v184, v85, v16
	v_dot2_f32_f16 v3, v5, v83, v3
	;; [unrolled: 1-line block ×3, first 2 shown]
	v_mov_b32_dpp v179, v179 dpp8:[0,0,0,0,0,0,0,0]
	v_mov_b32_dpp v215, v215 dpp8:[1,1,1,1,1,1,1,1]
	v_mov_b32_dpp v74, v74 dpp8:[2,2,2,2,2,2,2,2]
	v_dot2_f32_f16 v3, v6, v81, v3
	v_dot2_f32_f16 v4, v197, v79, v4
	v_mov_b32_dpp v96, v96 dpp8:[3,3,3,3,3,3,3,3]
	v_mov_b32_dpp v106, v106 dpp8:[4,4,4,4,4,4,4,4]
	;; [unrolled: 1-line block ×3, first 2 shown]
	v_dot2_f32_f16 v3, v7, v79, v3
	v_dot2_f32_f16 v4, v203, v77, v4
	v_mov_b32_dpp v136, v136 dpp8:[6,6,6,6,6,6,6,6]
	v_mov_b32_dpp v40, v40 dpp8:[7,7,7,7,7,7,7,7]
	v_dot2_f32_f16 v16, v190, v83, v16
	v_dot2_f32_f16 v3, v8, v77, v3
	;; [unrolled: 1-line block ×10, first 2 shown]
	v_mov_b32_e32 v127, v45
	v_dot2_f32_f16 v3, v10, v73, v3
	v_dot2_f32_f16 v4, v222, v71, v4
	;; [unrolled: 1-line block ×7, first 2 shown]
	v_dual_mov_b32 v53, v45 :: v_dual_mov_b32 v216, v45
	v_mov_b32_e32 v149, v45
	s_delay_alu instid0(VALU_DEP_4) | instskip(NEXT) | instid1(VALU_DEP_4)
	v_dot2_f32_f16 v3, v12, v69, v3
	v_dot2_f32_f16 v4, v163, v67, v4
	v_mov_b32_e32 v161, v45
	v_dot2_f32_f16 v16, v196, v81, v16
	v_mov_b32_e32 v93, v45
	v_dot2_f32_f16 v3, v21, v67, v3
	v_dot2_f32_f16 v4, v141, v64, v4
	v_mov_b32_dpp v127, v127 dpp8:[0,0,0,0,0,0,0,0]
	v_mov_b32_dpp v53, v53 dpp8:[2,2,2,2,2,2,2,2]
	;; [unrolled: 1-line block ×3, first 2 shown]
	v_dot2_f32_f16 v3, v22, v64, v3
	v_dot2_f32_f16 v4, v218, v62, v4
	v_mov_b32_dpp v149, v149 dpp8:[4,4,4,4,4,4,4,4]
	v_mov_b32_e32 v94, v45
	v_mov_b32_dpp v161, v161 dpp8:[6,6,6,6,6,6,6,6]
	v_dot2_f32_f16 v3, v23, v62, v3
	v_dot2_f32_f16 v4, v103, v60, v4
	v_mov_b32_e32 v92, v46
	v_mov_b32_e32 v138, v46
	;; [unrolled: 1-line block ×3, first 2 shown]
	v_dot2_f32_f16 v3, v24, v60, v3
	v_dot2_f32_f16 v4, v131, v58, v4
	v_mov_b32_e32 v139, v46
	v_dot2_f32_f16 v16, v202, v79, v16
	v_mov_b32_dpp v93, v93 dpp8:[1,1,1,1,1,1,1,1]
	v_dot2_f32_f16 v3, v37, v58, v3
	v_dot2_f32_f16 v4, v134, v56, v4
	;; [unrolled: 1-line block ×8, first 2 shown]
	v_mov_b32_dpp v94, v94 dpp8:[5,5,5,5,5,5,5,5]
	v_mov_b32_e32 v128, v46
	v_dot2_f32_f16 v3, v39, v54, v3
	v_dot2_f32_f16 v4, v179, v52, v4
	;; [unrolled: 1-line block ×3, first 2 shown]
	v_mov_b32_dpp v45, v45 dpp8:[7,7,7,7,7,7,7,7]
	v_mov_b32_dpp v92, v92 dpp8:[0,0,0,0,0,0,0,0]
	;; [unrolled: 1-line block ×4, first 2 shown]
	v_mov_b32_e32 v91, v46
	v_mov_b32_dpp v32, v32 dpp8:[4,4,4,4,4,4,4,4]
	v_mov_b32_dpp v139, v139 dpp8:[6,6,6,6,6,6,6,6]
	v_mov_b32_e32 v66, v47
	v_dot2_f32_f16 v16, v208, v77, v16
	v_dot2_f32_f16 v3, v40, v52, v3
	;; [unrolled: 1-line block ×5, first 2 shown]
	v_mov_b32_dpp v128, v128 dpp8:[1,1,1,1,1,1,1,1]
	v_dot2_f32_f16 v49, v45, v49, v51
	v_dot2_f32_f16 v51, v92, v112, v147
	;; [unrolled: 1-line block ×4, first 2 shown]
	v_mov_b32_dpp v91, v91 dpp8:[5,5,5,5,5,5,5,5]
	v_mov_b32_dpp v46, v46 dpp8:[7,7,7,7,7,7,7,7]
	v_dot2_f32_f16 v160, v32, v112, v170
	v_dot2_f32_f16 v170, v139, v112, v177
	v_mov_b32_dpp v66, v66 dpp8:[0,0,0,0,0,0,0,0]
	v_mov_b32_e32 v177, v48
	v_dot2_f32_f16 v16, v31, v75, v16
	v_dot2_f32_f16 v3, v45, v50, v3
	;; [unrolled: 1-line block ×6, first 2 shown]
	v_dual_mov_b32 v57, v47 :: v_dual_mov_b32 v68, v47
	v_mov_b32_e32 v90, v47
	v_mov_b32_e32 v112, v47
	v_mov_b32_e32 v120, v47
	v_mov_b32_e32 v162, v47
	v_mov_b32_dpp v47, v47 dpp8:[7,7,7,7,7,7,7,7]
	v_mov_b32_dpp v177, v177 dpp8:[0,0,0,0,0,0,0,0]
	v_dot2_f32_f16 v16, v214, v73, v16
	v_dot2_f32_f16 v3, v46, v113, v3
	;; [unrolled: 1-line block ×3, first 2 shown]
	scratch_load_b32 v11, off, off offset:684 th:TH_LOAD_LU ; 4-byte Folded Reload
	v_dot2_f32_f16 v28, v26, v87, v28
	v_dot2_f32_f16 v10, v227, v71, v16
	;; [unrolled: 1-line block ×4, first 2 shown]
	scratch_load_b64 v[3:4], off, off offset:676 th:TH_LOAD_LU ; 8-byte Folded Reload
	v_dot2_f32_f16 v28, v151, v85, v28
	v_dot2_f32_f16 v51, v66, v110, v51
	v_dot2_f32_f16 v27, v27, v87, v33
	v_dot2_f32_f16 v36, v36, v87, v59
	v_dot2_f32_f16 v34, v181, v85, v34
	v_dot2_f32_f16 v28, v186, v83, v28
	v_dot2_f32_f16 v1, v177, v108, v51
	v_dot2_f32_f16 v51, v150, v87, v70
	v_dot2_f32_f16 v27, v86, v85, v27
	v_dot2_f32_f16 v36, v182, v85, v36
	v_dot2_f32_f16 v5, v192, v81, v28
	v_mov_b32_dpp v57, v57 dpp8:[1,1,1,1,1,1,1,1]
	v_dot2_f32_f16 v51, v183, v85, v51
	v_mov_b32_e32 v121, v48
	v_dot2_f32_f16 v27, v84, v83, v27
	v_dot2_f32_f16 v5, v198, v79, v5
	;; [unrolled: 1-line block ×5, first 2 shown]
	v_mov_b32_dpp v121, v121 dpp8:[1,1,1,1,1,1,1,1]
	v_dot2_f32_f16 v5, v204, v77, v5
	v_dot2_f32_f16 v27, v82, v81, v27
	;; [unrolled: 1-line block ×53, first 2 shown]
	v_mov_b32_e32 v217, v48
	v_dot2_f32_f16 v9, v158, v60, v9
	v_dot2_f32_f16 v5, v124, v54, v5
	v_dot2_f32_f16 v49, v47, v110, v49
	v_dot2_f32_f16 v2, v121, v108, v43
	v_mov_b32_e32 v33, v48
	v_dot2_f32_f16 v9, v133, v58, v9
	v_dot2_f32_f16 v5, v215, v52, v5
	v_mov_b32_e32 v43, v48
	v_mov_b32_e32 v59, v48
	v_mov_b32_dpp v48, v48 dpp8:[7,7,7,7,7,7,7,7]
	v_dot2_f32_f16 v9, v165, v56, v9
	v_dot2_f32_f16 v5, v93, v50, v5
	;; [unrolled: 1-line block ×8, first 2 shown]
	v_mov_b32_dpp v162, v162 dpp8:[6,6,6,6,6,6,6,6]
	v_dot2_f32_f16 v49, v48, v108, v49
	v_dot2_f32_f16 v9, v126, v52, v9
	;; [unrolled: 1-line block ×9, first 2 shown]
	v_mov_b32_dpp v68, v68 dpp8:[2,2,2,2,2,2,2,2]
	v_mov_b32_dpp v59, v59 dpp8:[6,6,6,6,6,6,6,6]
	v_dot2_f32_f16 v9, v94, v50, v9
	v_dot2_f32_f16 v10, v162, v111, v10
	;; [unrolled: 1-line block ×4, first 2 shown]
	v_cvt_f16_f32_e32 v12, v12
	v_dot2_f32_f16 v7, v166, v62, v7
	v_dot2_f32_f16 v147, v68, v110, v147
	v_mov_b32_dpp v120, v120 dpp8:[5,5,5,5,5,5,5,5]
	v_dot2_f32_f16 v170, v162, v110, v170
	v_mov_b32_dpp v217, v217 dpp8:[2,2,2,2,2,2,2,2]
	v_dot2_f32_f16 v9, v91, v113, v9
	v_dot2_f32_f16 v10, v59, v109, v10
	;; [unrolled: 1-line block ×6, first 2 shown]
	v_mov_b32_dpp v43, v43 dpp8:[5,5,5,5,5,5,5,5]
	v_dot2_f32_f16 v147, v59, v108, v170
	v_dot2_f32_f16 v9, v120, v111, v9
	v_cvt_f16_f32_e32 v10, v10
	v_dot2_f32_f16 v137, v120, v110, v137
	v_dot2_f32_f16 v6, v63, v60, v6
	v_dot2_f32_f16 v8, v135, v54, v8
	v_dot2_f32_f16 v7, v101, v58, v7
	v_dot2_f32_f16 v9, v43, v109, v9
	v_dot2_f32_f16 v137, v43, v108, v137
	v_dot2_f32_f16 v6, v99, v58, v6
	v_dot2_f32_f16 v8, v106, v52, v8
	v_dot2_f32_f16 v7, v100, v56, v7
	v_mov_b32_dpp v112, v112 dpp8:[4,4,4,4,4,4,4,4]
	v_mov_b32_dpp v35, v35 dpp8:[4,4,4,4,4,4,4,4]
	v_dot2_f32_f16 v6, v98, v56, v6
	v_dot2_f32_f16 v8, v149, v50, v8
	;; [unrolled: 1-line block ×3, first 2 shown]
	v_mov_b32_dpp v90, v90 dpp8:[3,3,3,3,3,3,3,3]
	v_dot2_f32_f16 v160, v112, v110, v160
	v_dot2_f32_f16 v6, v122, v54, v6
	;; [unrolled: 1-line block ×9, first 2 shown]
	v_mov_b32_dpp v33, v33 dpp8:[3,3,3,3,3,3,3,3]
	v_cvt_f16_f32_e32 v2, v2
	v_dot2_f32_f16 v6, v53, v50, v6
	v_dot2_f32_f16 v8, v35, v109, v8
	;; [unrolled: 1-line block ×4, first 2 shown]
	v_cvt_f16_f32_e32 v1, v1
	v_dot2_f32_f16 v6, v129, v113, v6
	v_cvt_f16_f32_e32 v8, v8
	v_dot2_f32_f16 v7, v90, v111, v7
	s_delay_alu instid0(VALU_DEP_3) | instskip(NEXT) | instid1(VALU_DEP_2)
	v_dot2_f32_f16 v6, v68, v111, v6
	v_dot2_f32_f16 v7, v33, v109, v7
	s_delay_alu instid0(VALU_DEP_2) | instskip(NEXT) | instid1(VALU_DEP_2)
	v_dot2_f32_f16 v6, v217, v109, v6
	v_cvt_f16_f32_e32 v7, v7
	s_wait_loadcnt 0x0
	v_mad_co_u64_u32 v[3:4], null, s1, s7, v[3:4]
	scratch_load_b32 v4, off, off offset:672 th:TH_LOAD_LU ; 4-byte Folded Reload
	v_add_nc_u32_e32 v11, s33, v11
	s_delay_alu instid0(VALU_DEP_1) | instskip(SKIP_1) | instid1(VALU_DEP_2)
	v_lshrrev_b32_e32 v11, 5, v11
	v_cmp_gt_i32_e32 vcc_lo, s5, v3
	v_mul_lo_u32 v11, v11, s12
	s_wait_loadcnt 0x0
	s_delay_alu instid0(VALU_DEP_1) | instskip(NEXT) | instid1(VALU_DEP_1)
	v_and_or_b32 v11, v4, 24, v11
	v_cmp_gt_i32_e64 s1, s4, v11
	v_mad_co_u64_u32 v[4:5], null, v11, s3, v[3:4]
	v_add_nc_u32_e32 v3, s7, v3
	v_or_b32_e32 v22, 1, v11
	s_delay_alu instid0(VALU_DEP_4)
	s_and_b32 s0, s1, vcc_lo
	v_cvt_f16_f32_e32 v5, v119
	s_wait_alu 0xfffe
	v_cndmask_b32_e64 v23, 0x80000000, 0, s0
	v_cmp_gt_i32_e64 s0, s5, v3
	v_cmp_gt_i32_e64 s2, s4, v22
	v_add_nc_u32_e32 v3, s7, v4
	s_delay_alu instid0(VALU_DEP_4)
	v_lshl_add_u32 v22, v4, 1, v23
	s_and_b32 s1, s1, s0
	v_add_nc_u32_e32 v4, s3, v4
	s_wait_alu 0xfffe
	v_cndmask_b32_e64 v23, 0x80000000, 0, s1
	s_and_b32 s1, s2, s0
	v_add_nc_u32_e32 v24, s3, v3
	s_wait_alu 0xfffe
	v_cndmask_b32_e64 v27, 0x80000000, 0, s1
	s_and_b32 s1, vcc_lo, s2
	v_lshl_add_u32 v3, v3, 1, v23
	v_or_b32_e32 v23, 2, v11
	buffer_store_b16 v5, v22, s[8:11], null offen
	v_cvt_f16_f32_e32 v5, v25
	v_cndmask_b32_e64 v25, 0x80000000, 0, s1
	v_lshl_add_u32 v22, v24, 1, v27
	v_cmp_gt_i32_e64 s1, s4, v23
	s_clause 0x1
	buffer_store_b16 v5, v3, s[8:11], null offen
	buffer_store_b16 v20, v22, s[8:11], null offen
	v_or_b32_e32 v20, 3, v11
	s_and_b32 s2, vcc_lo, s1
	v_cvt_f16_f32_e32 v3, v118
	v_lshl_add_u32 v5, v4, 1, v25
	v_add_nc_u32_e32 v4, s3, v4
	s_wait_alu 0xfffe
	v_cndmask_b32_e64 v22, 0x80000000, 0, s2
	v_cmp_gt_i32_e64 s2, s4, v20
	s_and_b32 s1, s1, s0
	buffer_store_b16 v3, v5, s[8:11], null offen
	v_cvt_f16_f32_e32 v3, v117
	v_add_nc_u32_e32 v5, s3, v24
	v_lshl_add_u32 v4, v4, 1, v22
	v_cndmask_b32_e64 v20, 0x80000000, 0, s1
	s_and_b32 s1, s2, s0
	s_delay_alu instid0(VALU_DEP_3)
	v_add_nc_u32_e32 v22, s3, v5
	s_wait_alu 0xfffe
	v_cndmask_b32_e64 v23, 0x80000000, 0, s1
	buffer_store_b16 v3, v4, s[8:11], null offen
	v_lshl_add_u32 v4, v5, 1, v20
	v_or_b32_e32 v20, 4, v11
	s_and_b32 s1, vcc_lo, s2
	v_cvt_f16_f32_e32 v5, v18
	v_lshl_add_u32 v18, v22, 1, v23
	s_wait_alu 0xfffe
	v_cndmask_b32_e64 v23, 0x80000000, 0, s1
	v_cmp_gt_i32_e64 s1, s4, v20
	v_cvt_f16_f32_e32 v3, v19
	v_subrev_nc_u32_e32 v19, s7, v22
	s_clause 0x1
	buffer_store_b16 v3, v4, s[8:11], null offen
	buffer_store_b16 v5, v18, s[8:11], null offen
	s_and_b32 s2, vcc_lo, s1
	v_cvt_f16_f32_e32 v3, v116
	v_lshl_add_u32 v4, v19, 1, v23
	v_add_nc_u32_e32 v5, s3, v19
	v_or_b32_e32 v18, 5, v11
	s_wait_alu 0xfffe
	v_cndmask_b32_e64 v19, 0x80000000, 0, s2
	s_and_b32 s1, s1, s0
	buffer_store_b16 v3, v4, s[8:11], null offen
	v_cvt_f16_f32_e32 v3, v115
	v_add_nc_u32_e32 v4, s3, v22
	v_cmp_gt_i32_e64 s2, s4, v18
	v_lshl_add_u32 v5, v5, 1, v19
	v_cndmask_b32_e64 v18, 0x80000000, 0, s1
	s_delay_alu instid0(VALU_DEP_4)
	v_add_nc_u32_e32 v19, s3, v4
	s_and_b32 s1, s2, s0
	buffer_store_b16 v3, v5, s[8:11], null offen
	v_cvt_f16_f32_e32 v3, v15
	v_lshl_add_u32 v4, v4, 1, v18
	v_cndmask_b32_e64 v20, 0x80000000, 0, s1
	s_and_b32 s1, vcc_lo, s2
	v_cvt_f16_f32_e32 v5, v17
	s_wait_alu 0xfffe
	v_cndmask_b32_e64 v18, 0x80000000, 0, s1
	buffer_store_b16 v3, v4, s[8:11], null offen
	v_or_b32_e32 v3, 6, v11
	v_lshl_add_u32 v15, v19, 1, v20
	v_subrev_nc_u32_e32 v17, s7, v19
	v_or_b32_e32 v11, 7, v11
	v_cvt_f16_f32_e32 v4, v114
	v_cmp_gt_i32_e64 s1, s4, v3
	buffer_store_b16 v5, v15, s[8:11], null offen
	v_lshl_add_u32 v5, v17, 1, v18
	v_add_nc_u32_e32 v3, s3, v17
	v_cvt_f16_f32_e32 v15, v65
	s_and_b32 s5, vcc_lo, s1
	v_cmp_gt_i32_e64 s2, s4, v11
	s_wait_alu 0xfffe
	v_cndmask_b32_e64 v18, 0x80000000, 0, s5
	v_add_nc_u32_e32 v17, s3, v19
	s_and_b32 s1, s1, s0
	s_wait_alu 0xfffe
	v_cndmask_b32_e64 v19, 0x80000000, 0, s1
	v_lshl_add_u32 v3, v3, 1, v18
	s_clause 0x1
	buffer_store_b16 v4, v5, s[8:11], null offen
	buffer_store_b16 v15, v3, s[8:11], null offen
	v_add_nc_u32_e32 v3, s12, v11
	s_and_b32 s1, s2, s0
	v_add_nc_u32_e32 v20, s3, v17
	s_wait_alu 0xfffe
	v_cndmask_b32_e64 v22, 0x80000000, 0, s1
	v_lshl_add_u32 v18, v17, 1, v19
	v_cmp_gt_i32_e64 s1, s4, v3
	s_and_b32 s2, vcc_lo, s2
	v_subrev_nc_u32_e32 v4, s7, v20
	v_lshl_add_u32 v19, v20, 1, v22
	s_mul_i32 s12, s12, s3
	s_wait_alu 0xfffe
	v_cndmask_b32_e64 v5, 0x80000000, 0, s2
	s_and_b32 s2, vcc_lo, s1
	s_clause 0x1
	buffer_store_b16 v14, v18, s[8:11], null offen
	buffer_store_b16 v13, v19, s[8:11], null offen
	v_add_nc_u32_e32 v11, s12, v4
	v_cndmask_b32_e64 v13, 0x80000000, 0, s2
	s_and_b32 s1, s0, s1
	v_add_nc_u32_e32 v14, s12, v20
	s_wait_alu 0xfffe
	v_cndmask_b32_e64 v15, 0x80000000, 0, s1
	v_lshl_add_u32 v4, v4, 1, v5
	v_cmp_ge_i32_e64 s1, s4, v3
	v_cvt_f16_f32_e32 v5, v49
	v_lshl_add_u32 v11, v11, 1, v13
	v_lshl_add_u32 v13, v14, 1, v15
	buffer_store_b16 v0, v4, s[8:11], null offen
	v_add_nc_u32_e32 v4, -1, v3
	s_and_b32 s2, s0, s1
	buffer_store_b16 v5, v11, s[8:11], null offen
	v_add_nc_u32_e32 v0, s12, v17
	v_cndmask_b32_e64 v5, 0x80000000, 0, s2
	s_and_b32 s1, vcc_lo, s1
	buffer_store_b16 v12, v13, s[8:11], null offen
	v_cndmask_b32_e64 v12, 0x80000000, 0, s1
	v_add_nc_u32_e32 v13, -2, v3
	v_cmp_ge_i32_e64 s1, s4, v4
	v_subrev_nc_u32_e32 v11, s7, v0
	v_lshl_add_u32 v0, v0, 1, v5
	v_cvt_f16_f32_e64 v5, v147
	v_cmp_gt_i32_e64 s2, s4, v13
	s_and_b32 s1, vcc_lo, s1
	v_lshl_add_u32 v12, v11, 1, v12
	buffer_store_b16 v10, v0, s[8:11], null offen
	v_subrev_nc_u32_e32 v0, s3, v11
	v_cndmask_b32_e64 v4, 0x80000000, 0, s1
	s_and_b32 s1, s0, s2
	buffer_store_b16 v5, v12, s[8:11], null offen
	v_cndmask_b32_e64 v10, 0x80000000, 0, s1
	v_add_nc_u32_e32 v5, s7, v0
	v_lshl_add_u32 v0, v0, 1, v4
	v_cvt_f16_f32_e32 v4, v9
	v_add_nc_u32_e32 v9, -3, v3
	v_cvt_f16_f32_e64 v11, v137
	v_cmp_ge_i32_e64 s1, s4, v13
	v_lshl_add_u32 v10, v5, 1, v10
	s_delay_alu instid0(VALU_DEP_4)
	v_cmp_gt_i32_e64 s2, s4, v9
	buffer_store_b16 v11, v0, s[8:11], null offen
	v_subrev_nc_u32_e32 v0, s3, v5
	s_and_b32 s1, s0, s1
	buffer_store_b16 v4, v10, s[8:11], null offen
	v_cndmask_b32_e64 v4, 0x80000000, 0, s1
	s_and_b32 s1, vcc_lo, s2
	v_subrev_nc_u32_e32 v5, s7, v0
	s_wait_alu 0xfffe
	v_cndmask_b32_e64 v10, 0x80000000, 0, s1
	v_cmp_ge_i32_e64 s1, s4, v9
	v_lshl_add_u32 v0, v0, 1, v4
	v_cvt_f16_f32_e32 v4, v110
	s_delay_alu instid0(VALU_DEP_4)
	v_lshl_add_u32 v9, v5, 1, v10
	v_add_nc_u32_e32 v10, -4, v3
	s_and_b32 s1, vcc_lo, s1
	v_subrev_nc_u32_e32 v5, s3, v5
	s_wait_alu 0xfffe
	v_cndmask_b32_e64 v11, 0x80000000, 0, s1
	s_clause 0x1
	buffer_store_b16 v8, v0, s[8:11], null offen
	buffer_store_b16 v4, v9, s[8:11], null offen
	v_cmp_gt_i32_e64 s1, s4, v10
	v_cmp_ge_i32_e64 s2, s4, v10
	v_cvt_f16_f32_e32 v0, v70
	v_lshl_add_u32 v4, v5, 1, v11
	v_add_nc_u32_e32 v5, s7, v5
	s_and_b32 s1, s0, s1
	v_add_nc_u32_e32 v11, -5, v3
	s_wait_alu 0xfffe
	v_cndmask_b32_e64 v8, 0x80000000, 0, s1
	s_and_b32 s1, s0, s2
	v_subrev_nc_u32_e32 v9, s3, v5
	s_wait_alu 0xfffe
	v_cndmask_b32_e64 v10, 0x80000000, 0, s1
	v_cmp_gt_i32_e64 s1, s4, v11
	v_lshl_add_u32 v5, v5, 1, v8
	buffer_store_b16 v0, v4, s[8:11], null offen
	v_cvt_f16_f32_e32 v0, v6
	v_lshl_add_u32 v4, v9, 1, v10
	v_cmp_ge_i32_e64 s2, s4, v11
	buffer_store_b16 v7, v5, s[8:11], null offen
	v_subrev_nc_u32_e32 v5, s7, v9
	s_and_b32 s1, vcc_lo, s1
	buffer_store_b16 v0, v4, s[8:11], null offen
	v_cndmask_b32_e64 v0, 0x80000000, 0, s1
	s_and_b32 s1, vcc_lo, s2
	v_subrev_nc_u32_e32 v4, s3, v5
	s_wait_alu 0xfffe
	v_cndmask_b32_e64 v6, 0x80000000, 0, s1
	v_cvt_f16_f32_e32 v7, v26
	v_lshl_add_u32 v0, v5, 1, v0
	v_add_nc_u32_e32 v5, -6, v3
	v_add_nc_u32_e32 v3, -7, v3
	v_lshl_add_u32 v6, v4, 1, v6
	v_add_nc_u32_e32 v4, s7, v4
	v_cvt_f16_f32_e32 v8, v21
	v_cmp_gt_i32_e64 s1, s4, v5
	v_cmp_ge_i32_e64 s2, s4, v5
	s_delay_alu instid0(VALU_DEP_4)
	v_subrev_nc_u32_e32 v5, s3, v4
	v_cmp_gt_i32_e64 s3, s4, v3
	s_and_b32 s1, s0, s1
	s_and_b32 s0, s0, s2
	s_wait_alu 0xfffe
	v_cndmask_b32_e64 v3, 0x80000000, 0, s1
	v_cndmask_b32_e64 v9, 0x80000000, 0, s0
	s_and_b32 s0, vcc_lo, s3
	v_subrev_nc_u32_e32 v10, s7, v5
	s_wait_alu 0xfffe
	v_cndmask_b32_e64 v11, 0x80000000, 0, s0
	v_lshl_add_u32 v3, v4, 1, v3
	v_cvt_f16_f32_e32 v4, v16
	v_lshl_add_u32 v5, v5, 1, v9
	s_delay_alu instid0(VALU_DEP_4)
	v_lshl_add_u32 v9, v10, 1, v11
	s_clause 0x4
	buffer_store_b16 v7, v0, s[8:11], null offen
	buffer_store_b16 v2, v6, s[8:11], null offen
	;; [unrolled: 1-line block ×5, first 2 shown]
	s_nop 0
	s_sendmsg sendmsg(MSG_DEALLOC_VGPRS)
	s_endpgm
	.section	.rodata,"a",@progbits
	.p2align	6, 0x0
	.amdhsa_kernel _ZN2ck15kernel_gemm_dppINS_35GridwiseGemm_ak0mak1_bk0nbk1_mn_dppILi128EDF16_fDF16_LNS_25InMemoryDataOperationEnumE0ENS_13tensor_layout4gemm8RowMajorENS4_11ColumnMajorES5_NS_16tensor_operation12element_wise11PassThroughES9_S9_LNS7_6device18GemmSpecializationE4ELi64ELi64ELi64ELi32ELi8ELi8ELi2ELi2ELi2ENS_8SequenceIJLi4ELi32ELi1EEEENSC_IJLi1ELi0ELi2EEEESE_Li2ELi8ELi8ELb0ELb1ESD_SE_SE_Li2ELi2ELi2ELb0ELb1ENSC_IJLi0ELi2ELi4ELi1ELi3ELi5EEEELi5ELi1ELi1ELNS_15PipelineVersionE0EEELb1EEEvNT_8ArgumentE
		.amdhsa_group_segment_fixed_size 16624
		.amdhsa_private_segment_fixed_size 692
		.amdhsa_kernarg_size 80
		.amdhsa_user_sgpr_count 2
		.amdhsa_user_sgpr_dispatch_ptr 0
		.amdhsa_user_sgpr_queue_ptr 0
		.amdhsa_user_sgpr_kernarg_segment_ptr 1
		.amdhsa_user_sgpr_dispatch_id 0
		.amdhsa_user_sgpr_private_segment_size 0
		.amdhsa_wavefront_size32 1
		.amdhsa_uses_dynamic_stack 0
		.amdhsa_enable_private_segment 1
		.amdhsa_system_sgpr_workgroup_id_x 1
		.amdhsa_system_sgpr_workgroup_id_y 0
		.amdhsa_system_sgpr_workgroup_id_z 0
		.amdhsa_system_sgpr_workgroup_info 0
		.amdhsa_system_vgpr_workitem_id 0
		.amdhsa_next_free_vgpr 256
		.amdhsa_next_free_sgpr 39
		.amdhsa_reserve_vcc 1
		.amdhsa_float_round_mode_32 0
		.amdhsa_float_round_mode_16_64 0
		.amdhsa_float_denorm_mode_32 3
		.amdhsa_float_denorm_mode_16_64 3
		.amdhsa_fp16_overflow 0
		.amdhsa_workgroup_processor_mode 1
		.amdhsa_memory_ordered 1
		.amdhsa_forward_progress 1
		.amdhsa_inst_pref_size 255
		.amdhsa_round_robin_scheduling 0
		.amdhsa_exception_fp_ieee_invalid_op 0
		.amdhsa_exception_fp_denorm_src 0
		.amdhsa_exception_fp_ieee_div_zero 0
		.amdhsa_exception_fp_ieee_overflow 0
		.amdhsa_exception_fp_ieee_underflow 0
		.amdhsa_exception_fp_ieee_inexact 0
		.amdhsa_exception_int_div_zero 0
	.end_amdhsa_kernel
	.section	.text._ZN2ck15kernel_gemm_dppINS_35GridwiseGemm_ak0mak1_bk0nbk1_mn_dppILi128EDF16_fDF16_LNS_25InMemoryDataOperationEnumE0ENS_13tensor_layout4gemm8RowMajorENS4_11ColumnMajorES5_NS_16tensor_operation12element_wise11PassThroughES9_S9_LNS7_6device18GemmSpecializationE4ELi64ELi64ELi64ELi32ELi8ELi8ELi2ELi2ELi2ENS_8SequenceIJLi4ELi32ELi1EEEENSC_IJLi1ELi0ELi2EEEESE_Li2ELi8ELi8ELb0ELb1ESD_SE_SE_Li2ELi2ELi2ELb0ELb1ENSC_IJLi0ELi2ELi4ELi1ELi3ELi5EEEELi5ELi1ELi1ELNS_15PipelineVersionE0EEELb1EEEvNT_8ArgumentE,"axG",@progbits,_ZN2ck15kernel_gemm_dppINS_35GridwiseGemm_ak0mak1_bk0nbk1_mn_dppILi128EDF16_fDF16_LNS_25InMemoryDataOperationEnumE0ENS_13tensor_layout4gemm8RowMajorENS4_11ColumnMajorES5_NS_16tensor_operation12element_wise11PassThroughES9_S9_LNS7_6device18GemmSpecializationE4ELi64ELi64ELi64ELi32ELi8ELi8ELi2ELi2ELi2ENS_8SequenceIJLi4ELi32ELi1EEEENSC_IJLi1ELi0ELi2EEEESE_Li2ELi8ELi8ELb0ELb1ESD_SE_SE_Li2ELi2ELi2ELb0ELb1ENSC_IJLi0ELi2ELi4ELi1ELi3ELi5EEEELi5ELi1ELi1ELNS_15PipelineVersionE0EEELb1EEEvNT_8ArgumentE,comdat
.Lfunc_end1:
	.size	_ZN2ck15kernel_gemm_dppINS_35GridwiseGemm_ak0mak1_bk0nbk1_mn_dppILi128EDF16_fDF16_LNS_25InMemoryDataOperationEnumE0ENS_13tensor_layout4gemm8RowMajorENS4_11ColumnMajorES5_NS_16tensor_operation12element_wise11PassThroughES9_S9_LNS7_6device18GemmSpecializationE4ELi64ELi64ELi64ELi32ELi8ELi8ELi2ELi2ELi2ENS_8SequenceIJLi4ELi32ELi1EEEENSC_IJLi1ELi0ELi2EEEESE_Li2ELi8ELi8ELb0ELb1ESD_SE_SE_Li2ELi2ELi2ELb0ELb1ENSC_IJLi0ELi2ELi4ELi1ELi3ELi5EEEELi5ELi1ELi1ELNS_15PipelineVersionE0EEELb1EEEvNT_8ArgumentE, .Lfunc_end1-_ZN2ck15kernel_gemm_dppINS_35GridwiseGemm_ak0mak1_bk0nbk1_mn_dppILi128EDF16_fDF16_LNS_25InMemoryDataOperationEnumE0ENS_13tensor_layout4gemm8RowMajorENS4_11ColumnMajorES5_NS_16tensor_operation12element_wise11PassThroughES9_S9_LNS7_6device18GemmSpecializationE4ELi64ELi64ELi64ELi32ELi8ELi8ELi2ELi2ELi2ENS_8SequenceIJLi4ELi32ELi1EEEENSC_IJLi1ELi0ELi2EEEESE_Li2ELi8ELi8ELb0ELb1ESD_SE_SE_Li2ELi2ELi2ELb0ELb1ENSC_IJLi0ELi2ELi4ELi1ELi3ELi5EEEELi5ELi1ELi1ELNS_15PipelineVersionE0EEELb1EEEvNT_8ArgumentE
                                        ; -- End function
	.set _ZN2ck15kernel_gemm_dppINS_35GridwiseGemm_ak0mak1_bk0nbk1_mn_dppILi128EDF16_fDF16_LNS_25InMemoryDataOperationEnumE0ENS_13tensor_layout4gemm8RowMajorENS4_11ColumnMajorES5_NS_16tensor_operation12element_wise11PassThroughES9_S9_LNS7_6device18GemmSpecializationE4ELi64ELi64ELi64ELi32ELi8ELi8ELi2ELi2ELi2ENS_8SequenceIJLi4ELi32ELi1EEEENSC_IJLi1ELi0ELi2EEEESE_Li2ELi8ELi8ELb0ELb1ESD_SE_SE_Li2ELi2ELi2ELb0ELb1ENSC_IJLi0ELi2ELi4ELi1ELi3ELi5EEEELi5ELi1ELi1ELNS_15PipelineVersionE0EEELb1EEEvNT_8ArgumentE.num_vgpr, 256
	.set _ZN2ck15kernel_gemm_dppINS_35GridwiseGemm_ak0mak1_bk0nbk1_mn_dppILi128EDF16_fDF16_LNS_25InMemoryDataOperationEnumE0ENS_13tensor_layout4gemm8RowMajorENS4_11ColumnMajorES5_NS_16tensor_operation12element_wise11PassThroughES9_S9_LNS7_6device18GemmSpecializationE4ELi64ELi64ELi64ELi32ELi8ELi8ELi2ELi2ELi2ENS_8SequenceIJLi4ELi32ELi1EEEENSC_IJLi1ELi0ELi2EEEESE_Li2ELi8ELi8ELb0ELb1ESD_SE_SE_Li2ELi2ELi2ELb0ELb1ENSC_IJLi0ELi2ELi4ELi1ELi3ELi5EEEELi5ELi1ELi1ELNS_15PipelineVersionE0EEELb1EEEvNT_8ArgumentE.num_agpr, 0
	.set _ZN2ck15kernel_gemm_dppINS_35GridwiseGemm_ak0mak1_bk0nbk1_mn_dppILi128EDF16_fDF16_LNS_25InMemoryDataOperationEnumE0ENS_13tensor_layout4gemm8RowMajorENS4_11ColumnMajorES5_NS_16tensor_operation12element_wise11PassThroughES9_S9_LNS7_6device18GemmSpecializationE4ELi64ELi64ELi64ELi32ELi8ELi8ELi2ELi2ELi2ENS_8SequenceIJLi4ELi32ELi1EEEENSC_IJLi1ELi0ELi2EEEESE_Li2ELi8ELi8ELb0ELb1ESD_SE_SE_Li2ELi2ELi2ELb0ELb1ENSC_IJLi0ELi2ELi4ELi1ELi3ELi5EEEELi5ELi1ELi1ELNS_15PipelineVersionE0EEELb1EEEvNT_8ArgumentE.numbered_sgpr, 39
	.set _ZN2ck15kernel_gemm_dppINS_35GridwiseGemm_ak0mak1_bk0nbk1_mn_dppILi128EDF16_fDF16_LNS_25InMemoryDataOperationEnumE0ENS_13tensor_layout4gemm8RowMajorENS4_11ColumnMajorES5_NS_16tensor_operation12element_wise11PassThroughES9_S9_LNS7_6device18GemmSpecializationE4ELi64ELi64ELi64ELi32ELi8ELi8ELi2ELi2ELi2ENS_8SequenceIJLi4ELi32ELi1EEEENSC_IJLi1ELi0ELi2EEEESE_Li2ELi8ELi8ELb0ELb1ESD_SE_SE_Li2ELi2ELi2ELb0ELb1ENSC_IJLi0ELi2ELi4ELi1ELi3ELi5EEEELi5ELi1ELi1ELNS_15PipelineVersionE0EEELb1EEEvNT_8ArgumentE.num_named_barrier, 0
	.set _ZN2ck15kernel_gemm_dppINS_35GridwiseGemm_ak0mak1_bk0nbk1_mn_dppILi128EDF16_fDF16_LNS_25InMemoryDataOperationEnumE0ENS_13tensor_layout4gemm8RowMajorENS4_11ColumnMajorES5_NS_16tensor_operation12element_wise11PassThroughES9_S9_LNS7_6device18GemmSpecializationE4ELi64ELi64ELi64ELi32ELi8ELi8ELi2ELi2ELi2ENS_8SequenceIJLi4ELi32ELi1EEEENSC_IJLi1ELi0ELi2EEEESE_Li2ELi8ELi8ELb0ELb1ESD_SE_SE_Li2ELi2ELi2ELb0ELb1ENSC_IJLi0ELi2ELi4ELi1ELi3ELi5EEEELi5ELi1ELi1ELNS_15PipelineVersionE0EEELb1EEEvNT_8ArgumentE.private_seg_size, 692
	.set _ZN2ck15kernel_gemm_dppINS_35GridwiseGemm_ak0mak1_bk0nbk1_mn_dppILi128EDF16_fDF16_LNS_25InMemoryDataOperationEnumE0ENS_13tensor_layout4gemm8RowMajorENS4_11ColumnMajorES5_NS_16tensor_operation12element_wise11PassThroughES9_S9_LNS7_6device18GemmSpecializationE4ELi64ELi64ELi64ELi32ELi8ELi8ELi2ELi2ELi2ENS_8SequenceIJLi4ELi32ELi1EEEENSC_IJLi1ELi0ELi2EEEESE_Li2ELi8ELi8ELb0ELb1ESD_SE_SE_Li2ELi2ELi2ELb0ELb1ENSC_IJLi0ELi2ELi4ELi1ELi3ELi5EEEELi5ELi1ELi1ELNS_15PipelineVersionE0EEELb1EEEvNT_8ArgumentE.uses_vcc, 1
	.set _ZN2ck15kernel_gemm_dppINS_35GridwiseGemm_ak0mak1_bk0nbk1_mn_dppILi128EDF16_fDF16_LNS_25InMemoryDataOperationEnumE0ENS_13tensor_layout4gemm8RowMajorENS4_11ColumnMajorES5_NS_16tensor_operation12element_wise11PassThroughES9_S9_LNS7_6device18GemmSpecializationE4ELi64ELi64ELi64ELi32ELi8ELi8ELi2ELi2ELi2ENS_8SequenceIJLi4ELi32ELi1EEEENSC_IJLi1ELi0ELi2EEEESE_Li2ELi8ELi8ELb0ELb1ESD_SE_SE_Li2ELi2ELi2ELb0ELb1ENSC_IJLi0ELi2ELi4ELi1ELi3ELi5EEEELi5ELi1ELi1ELNS_15PipelineVersionE0EEELb1EEEvNT_8ArgumentE.uses_flat_scratch, 1
	.set _ZN2ck15kernel_gemm_dppINS_35GridwiseGemm_ak0mak1_bk0nbk1_mn_dppILi128EDF16_fDF16_LNS_25InMemoryDataOperationEnumE0ENS_13tensor_layout4gemm8RowMajorENS4_11ColumnMajorES5_NS_16tensor_operation12element_wise11PassThroughES9_S9_LNS7_6device18GemmSpecializationE4ELi64ELi64ELi64ELi32ELi8ELi8ELi2ELi2ELi2ENS_8SequenceIJLi4ELi32ELi1EEEENSC_IJLi1ELi0ELi2EEEESE_Li2ELi8ELi8ELb0ELb1ESD_SE_SE_Li2ELi2ELi2ELb0ELb1ENSC_IJLi0ELi2ELi4ELi1ELi3ELi5EEEELi5ELi1ELi1ELNS_15PipelineVersionE0EEELb1EEEvNT_8ArgumentE.has_dyn_sized_stack, 0
	.set _ZN2ck15kernel_gemm_dppINS_35GridwiseGemm_ak0mak1_bk0nbk1_mn_dppILi128EDF16_fDF16_LNS_25InMemoryDataOperationEnumE0ENS_13tensor_layout4gemm8RowMajorENS4_11ColumnMajorES5_NS_16tensor_operation12element_wise11PassThroughES9_S9_LNS7_6device18GemmSpecializationE4ELi64ELi64ELi64ELi32ELi8ELi8ELi2ELi2ELi2ENS_8SequenceIJLi4ELi32ELi1EEEENSC_IJLi1ELi0ELi2EEEESE_Li2ELi8ELi8ELb0ELb1ESD_SE_SE_Li2ELi2ELi2ELb0ELb1ENSC_IJLi0ELi2ELi4ELi1ELi3ELi5EEEELi5ELi1ELi1ELNS_15PipelineVersionE0EEELb1EEEvNT_8ArgumentE.has_recursion, 0
	.set _ZN2ck15kernel_gemm_dppINS_35GridwiseGemm_ak0mak1_bk0nbk1_mn_dppILi128EDF16_fDF16_LNS_25InMemoryDataOperationEnumE0ENS_13tensor_layout4gemm8RowMajorENS4_11ColumnMajorES5_NS_16tensor_operation12element_wise11PassThroughES9_S9_LNS7_6device18GemmSpecializationE4ELi64ELi64ELi64ELi32ELi8ELi8ELi2ELi2ELi2ENS_8SequenceIJLi4ELi32ELi1EEEENSC_IJLi1ELi0ELi2EEEESE_Li2ELi8ELi8ELb0ELb1ESD_SE_SE_Li2ELi2ELi2ELb0ELb1ENSC_IJLi0ELi2ELi4ELi1ELi3ELi5EEEELi5ELi1ELi1ELNS_15PipelineVersionE0EEELb1EEEvNT_8ArgumentE.has_indirect_call, 0
	.section	.AMDGPU.csdata,"",@progbits
; Kernel info:
; codeLenInByte = 40276
; TotalNumSgprs: 41
; NumVgprs: 256
; ScratchSize: 692
; MemoryBound: 0
; FloatMode: 240
; IeeeMode: 1
; LDSByteSize: 16624 bytes/workgroup (compile time only)
; SGPRBlocks: 0
; VGPRBlocks: 31
; NumSGPRsForWavesPerEU: 41
; NumVGPRsForWavesPerEU: 256
; Occupancy: 5
; WaveLimiterHint : 0
; COMPUTE_PGM_RSRC2:SCRATCH_EN: 1
; COMPUTE_PGM_RSRC2:USER_SGPR: 2
; COMPUTE_PGM_RSRC2:TRAP_HANDLER: 0
; COMPUTE_PGM_RSRC2:TGID_X_EN: 1
; COMPUTE_PGM_RSRC2:TGID_Y_EN: 0
; COMPUTE_PGM_RSRC2:TGID_Z_EN: 0
; COMPUTE_PGM_RSRC2:TIDIG_COMP_CNT: 0
	.section	.text._ZN2ck15kernel_gemm_dppINS_35GridwiseGemm_ak0mak1_bk0nbk1_mn_dppILi128EDF16_fDF16_LNS_25InMemoryDataOperationEnumE0ENS_13tensor_layout4gemm8RowMajorENS4_11ColumnMajorES5_NS_16tensor_operation12element_wise11PassThroughES9_S9_LNS7_6device18GemmSpecializationE4ELi64ELi64ELi64ELi32ELi8ELi8ELi2ELi2ELi2ENS_8SequenceIJLi4ELi32ELi1EEEENSC_IJLi1ELi0ELi2EEEESE_Li2ELi8ELi8ELb0ELb1ESD_SE_SE_Li2ELi2ELi2ELb0ELb1ENSC_IJLi0ELi2ELi4ELi1ELi3ELi5EEEELi5ELi1ELi1ELNS_15PipelineVersionE0EEELb0EEEvNT_8ArgumentE,"axG",@progbits,_ZN2ck15kernel_gemm_dppINS_35GridwiseGemm_ak0mak1_bk0nbk1_mn_dppILi128EDF16_fDF16_LNS_25InMemoryDataOperationEnumE0ENS_13tensor_layout4gemm8RowMajorENS4_11ColumnMajorES5_NS_16tensor_operation12element_wise11PassThroughES9_S9_LNS7_6device18GemmSpecializationE4ELi64ELi64ELi64ELi32ELi8ELi8ELi2ELi2ELi2ENS_8SequenceIJLi4ELi32ELi1EEEENSC_IJLi1ELi0ELi2EEEESE_Li2ELi8ELi8ELb0ELb1ESD_SE_SE_Li2ELi2ELi2ELb0ELb1ENSC_IJLi0ELi2ELi4ELi1ELi3ELi5EEEELi5ELi1ELi1ELNS_15PipelineVersionE0EEELb0EEEvNT_8ArgumentE,comdat
	.protected	_ZN2ck15kernel_gemm_dppINS_35GridwiseGemm_ak0mak1_bk0nbk1_mn_dppILi128EDF16_fDF16_LNS_25InMemoryDataOperationEnumE0ENS_13tensor_layout4gemm8RowMajorENS4_11ColumnMajorES5_NS_16tensor_operation12element_wise11PassThroughES9_S9_LNS7_6device18GemmSpecializationE4ELi64ELi64ELi64ELi32ELi8ELi8ELi2ELi2ELi2ENS_8SequenceIJLi4ELi32ELi1EEEENSC_IJLi1ELi0ELi2EEEESE_Li2ELi8ELi8ELb0ELb1ESD_SE_SE_Li2ELi2ELi2ELb0ELb1ENSC_IJLi0ELi2ELi4ELi1ELi3ELi5EEEELi5ELi1ELi1ELNS_15PipelineVersionE0EEELb0EEEvNT_8ArgumentE ; -- Begin function _ZN2ck15kernel_gemm_dppINS_35GridwiseGemm_ak0mak1_bk0nbk1_mn_dppILi128EDF16_fDF16_LNS_25InMemoryDataOperationEnumE0ENS_13tensor_layout4gemm8RowMajorENS4_11ColumnMajorES5_NS_16tensor_operation12element_wise11PassThroughES9_S9_LNS7_6device18GemmSpecializationE4ELi64ELi64ELi64ELi32ELi8ELi8ELi2ELi2ELi2ENS_8SequenceIJLi4ELi32ELi1EEEENSC_IJLi1ELi0ELi2EEEESE_Li2ELi8ELi8ELb0ELb1ESD_SE_SE_Li2ELi2ELi2ELb0ELb1ENSC_IJLi0ELi2ELi4ELi1ELi3ELi5EEEELi5ELi1ELi1ELNS_15PipelineVersionE0EEELb0EEEvNT_8ArgumentE
	.globl	_ZN2ck15kernel_gemm_dppINS_35GridwiseGemm_ak0mak1_bk0nbk1_mn_dppILi128EDF16_fDF16_LNS_25InMemoryDataOperationEnumE0ENS_13tensor_layout4gemm8RowMajorENS4_11ColumnMajorES5_NS_16tensor_operation12element_wise11PassThroughES9_S9_LNS7_6device18GemmSpecializationE4ELi64ELi64ELi64ELi32ELi8ELi8ELi2ELi2ELi2ENS_8SequenceIJLi4ELi32ELi1EEEENSC_IJLi1ELi0ELi2EEEESE_Li2ELi8ELi8ELb0ELb1ESD_SE_SE_Li2ELi2ELi2ELb0ELb1ENSC_IJLi0ELi2ELi4ELi1ELi3ELi5EEEELi5ELi1ELi1ELNS_15PipelineVersionE0EEELb0EEEvNT_8ArgumentE
	.p2align	8
	.type	_ZN2ck15kernel_gemm_dppINS_35GridwiseGemm_ak0mak1_bk0nbk1_mn_dppILi128EDF16_fDF16_LNS_25InMemoryDataOperationEnumE0ENS_13tensor_layout4gemm8RowMajorENS4_11ColumnMajorES5_NS_16tensor_operation12element_wise11PassThroughES9_S9_LNS7_6device18GemmSpecializationE4ELi64ELi64ELi64ELi32ELi8ELi8ELi2ELi2ELi2ENS_8SequenceIJLi4ELi32ELi1EEEENSC_IJLi1ELi0ELi2EEEESE_Li2ELi8ELi8ELb0ELb1ESD_SE_SE_Li2ELi2ELi2ELb0ELb1ENSC_IJLi0ELi2ELi4ELi1ELi3ELi5EEEELi5ELi1ELi1ELNS_15PipelineVersionE0EEELb0EEEvNT_8ArgumentE,@function
_ZN2ck15kernel_gemm_dppINS_35GridwiseGemm_ak0mak1_bk0nbk1_mn_dppILi128EDF16_fDF16_LNS_25InMemoryDataOperationEnumE0ENS_13tensor_layout4gemm8RowMajorENS4_11ColumnMajorES5_NS_16tensor_operation12element_wise11PassThroughES9_S9_LNS7_6device18GemmSpecializationE4ELi64ELi64ELi64ELi32ELi8ELi8ELi2ELi2ELi2ENS_8SequenceIJLi4ELi32ELi1EEEENSC_IJLi1ELi0ELi2EEEESE_Li2ELi8ELi8ELb0ELb1ESD_SE_SE_Li2ELi2ELi2ELb0ELb1ENSC_IJLi0ELi2ELi4ELi1ELi3ELi5EEEELi5ELi1ELi1ELNS_15PipelineVersionE0EEELb0EEEvNT_8ArgumentE: ; @_ZN2ck15kernel_gemm_dppINS_35GridwiseGemm_ak0mak1_bk0nbk1_mn_dppILi128EDF16_fDF16_LNS_25InMemoryDataOperationEnumE0ENS_13tensor_layout4gemm8RowMajorENS4_11ColumnMajorES5_NS_16tensor_operation12element_wise11PassThroughES9_S9_LNS7_6device18GemmSpecializationE4ELi64ELi64ELi64ELi32ELi8ELi8ELi2ELi2ELi2ENS_8SequenceIJLi4ELi32ELi1EEEENSC_IJLi1ELi0ELi2EEEESE_Li2ELi8ELi8ELb0ELb1ESD_SE_SE_Li2ELi2ELi2ELb0ELb1ENSC_IJLi0ELi2ELi4ELi1ELi3ELi5EEEELi5ELi1ELi1ELNS_15PipelineVersionE0EEELb0EEEvNT_8ArgumentE
; %bb.0:
	s_clause 0x3
	s_load_b128 s[8:11], s[0:1], 0x10
	s_load_b64 s[20:21], s[0:1], 0x20
	s_load_b128 s[16:19], s[0:1], 0x38
	s_load_b64 s[4:5], s[0:1], 0x48
	s_mov_b32 s7, 0
	v_mov_b32_e32 v3, v0
	s_mov_b32 s12, s7
	s_wait_kmcnt 0x0
	s_mov_b32 s6, s11
	s_add_co_i32 s13, s8, -1
	s_ashr_i32 s3, s10, 31
	s_mul_u64 s[0:1], s[12:13], s[6:7]
	s_mov_b32 s2, s10
	s_ashr_i32 s15, s1, 31
	s_mov_b32 s14, s1
	s_delay_alu instid0(SALU_CYCLE_1)
	s_add_nc_u64 s[0:1], s[14:15], s[2:3]
	s_getpc_b64 s[14:15]
	s_sext_i32_i16 s15, s15
	s_add_co_u32 s14, s14, _ZN2ck35GridwiseGemm_ak0mak1_bk0nbk1_mn_dppILi128EDF16_fDF16_LNS_25InMemoryDataOperationEnumE0ENS_13tensor_layout4gemm8RowMajorENS3_11ColumnMajorES4_NS_16tensor_operation12element_wise11PassThroughES8_S8_LNS6_6device18GemmSpecializationE4ELi64ELi64ELi64ELi32ELi8ELi8ELi2ELi2ELi2ENS_8SequenceIJLi4ELi32ELi1EEEENSB_IJLi1ELi0ELi2EEEESD_Li2ELi8ELi8ELb0ELb1ESC_SD_SD_Li2ELi2ELi2ELb0ELb1ENSB_IJLi0ELi2ELi4ELi1ELi3ELi5EEEELi5ELi1ELi1ELNS_15PipelineVersionE0EE13matrix_padderE@rel32@lo+8
	s_add_co_ci_u32 s15, s15, _ZN2ck35GridwiseGemm_ak0mak1_bk0nbk1_mn_dppILi128EDF16_fDF16_LNS_25InMemoryDataOperationEnumE0ENS_13tensor_layout4gemm8RowMajorENS3_11ColumnMajorES4_NS_16tensor_operation12element_wise11PassThroughES8_S8_LNS6_6device18GemmSpecializationE4ELi64ELi64ELi64ELi32ELi8ELi8ELi2ELi2ELi2ENS_8SequenceIJLi4ELi32ELi1EEEENSB_IJLi1ELi0ELi2EEEESD_Li2ELi8ELi8ELb0ELb1ESC_SD_SD_Li2ELi2ELi2ELb0ELb1ENSB_IJLi0ELi2ELi4ELi1ELi3ELi5EEEELi5ELi1ELi1ELNS_15PipelineVersionE0EE13matrix_padderE@rel32@hi+16
	s_load_b64 s[14:15], s[14:15], 0x0
	s_wait_kmcnt 0x0
	s_add_co_i32 s1, s13, s14
	s_abs_i32 s14, s14
	s_abs_i32 s10, s1
	s_cvt_f32_u32 s22, s14
	s_sub_co_i32 s23, 0, s14
	s_ashr_i32 s6, s1, 31
	s_delay_alu instid0(SALU_CYCLE_1) | instskip(NEXT) | instid1(TRANS32_DEP_1)
	v_rcp_iflag_f32_e32 v0, s22
	v_readfirstlane_b32 s22, v0
	s_mul_f32 s22, s22, 0x4f7ffffe
	s_wait_alu 0xfffe
	s_delay_alu instid0(SALU_CYCLE_2) | instskip(SKIP_1) | instid1(SALU_CYCLE_2)
	s_cvt_u32_f32 s22, s22
	s_wait_alu 0xfffe
	s_mul_i32 s23, s23, s22
	s_wait_alu 0xfffe
	s_mul_hi_u32 s23, s22, s23
	s_wait_alu 0xfffe
	s_add_co_i32 s22, s22, s23
	s_wait_alu 0xfffe
	s_mul_hi_u32 s22, s10, s22
	s_wait_alu 0xfffe
	s_mul_i32 s22, s22, s14
	s_wait_alu 0xfffe
	s_sub_co_i32 s10, s10, s22
	s_delay_alu instid0(SALU_CYCLE_1) | instskip(SKIP_3) | instid1(SALU_CYCLE_1)
	s_sub_co_i32 s22, s10, s14
	s_cmp_ge_u32 s10, s14
	s_wait_alu 0xfffe
	s_cselect_b32 s10, s22, s10
	s_sub_co_i32 s22, s10, s14
	s_cmp_ge_u32 s10, s14
	s_wait_alu 0xfffe
	s_cselect_b32 s10, s22, s10
	s_add_co_i32 s23, s9, -1
	s_xor_b32 s10, s10, s6
	s_mov_b32 s22, s7
	s_sub_co_i32 s6, s6, s10
	s_abs_i32 s14, s15
	s_add_co_i32 s1, s1, s6
	s_mov_b32 s6, s20
	s_wait_alu 0xfffe
	s_mul_u64 s[22:23], s[22:23], s[6:7]
	s_sub_co_i32 s22, 0, s14
	s_wait_alu 0xfffe
	s_ashr_i32 s25, s23, 31
	s_mov_b32 s24, s23
	s_delay_alu instid0(SALU_CYCLE_1) | instskip(SKIP_3) | instid1(SALU_CYCLE_1)
	s_add_nc_u64 s[2:3], s[24:25], s[2:3]
	s_add_co_i32 s3, s9, s15
	s_cvt_f32_u32 s15, s14
	s_add_co_i32 s3, s3, -1
	s_abs_i32 s10, s3
	s_delay_alu instid0(SALU_CYCLE_1) | instskip(SKIP_1) | instid1(TRANS32_DEP_1)
	v_rcp_iflag_f32_e32 v0, s15
	s_ashr_i32 s6, s3, 31
	v_readfirstlane_b32 s15, v0
	s_mul_f32 s15, s15, 0x4f7ffffe
	s_wait_alu 0xfffe
	s_delay_alu instid0(SALU_CYCLE_2) | instskip(SKIP_1) | instid1(SALU_CYCLE_2)
	s_cvt_u32_f32 s15, s15
	s_wait_alu 0xfffe
	s_mul_i32 s22, s22, s15
	s_wait_alu 0xfffe
	s_mul_hi_u32 s22, s15, s22
	s_wait_alu 0xfffe
	s_add_co_i32 s15, s15, s22
	s_wait_alu 0xfffe
	s_mul_hi_u32 s15, s10, s15
	s_wait_alu 0xfffe
	s_mul_i32 s15, s15, s14
	s_wait_alu 0xfffe
	s_sub_co_i32 s10, s10, s15
	s_delay_alu instid0(SALU_CYCLE_1) | instskip(SKIP_3) | instid1(SALU_CYCLE_1)
	s_sub_co_i32 s15, s10, s14
	s_cmp_ge_u32 s10, s14
	s_wait_alu 0xfffe
	s_cselect_b32 s10, s15, s10
	s_sub_co_i32 s15, s10, s14
	s_cmp_ge_u32 s10, s14
	s_wait_alu 0xfffe
	s_cselect_b32 s10, s15, s10
	s_delay_alu instid0(SALU_CYCLE_1) | instskip(NEXT) | instid1(SALU_CYCLE_1)
	s_xor_b32 s10, s10, s6
	s_sub_co_i32 s6, s6, s10
	s_delay_alu instid0(SALU_CYCLE_1) | instskip(SKIP_1) | instid1(SALU_CYCLE_1)
	s_add_co_i32 s14, s3, s6
	s_mov_b32 s6, s21
	s_mul_u64 s[6:7], s[12:13], s[6:7]
	s_mov_b32 s6, s9
	s_ashr_i32 s13, s7, 31
	s_mov_b32 s12, s7
	s_ashr_i32 s7, s9, 31
	s_delay_alu instid0(SALU_CYCLE_1)
	s_add_nc_u64 s[6:7], s[12:13], s[6:7]
	s_getpc_b64 s[12:13]
	s_sext_i32_i16 s13, s13
	s_add_co_u32 s12, s12, _ZN2ck45BlockwiseGemmDpp_ak0mak1_bk0nbk1_m0n0m1n1m2n2ILi128EDF16_fKNS_16TensorDescriptorINS_5TupleIJNS_5EmbedINS2_IJNS_17integral_constantIiLi8EEENS4_IiLi64EEES5_EEENS2_IJNS4_IiLi520EEES5_NS4_IiLi1EEEEEELb0EEEEEENS2_IJNS_8SequenceIJLi0EEEEEEENS2_IJNSD_IJLi1ELi2ELi3EEEEEEESG_NS4_IlLl4152EEEEEKNS1_INS2_IJNS3_INS2_IJNS4_IiLi32EEES6_NS4_IiLi2EEEEEENS2_IJNS4_IiLi130EEESM_S9_EEELb0EEEEEESF_SH_SG_NS4_IlLl4158EEEEELi32ELi8ELi2ELi2ELi8EE6MWavesE@rel32@lo+8
	s_add_co_ci_u32 s13, s13, _ZN2ck45BlockwiseGemmDpp_ak0mak1_bk0nbk1_m0n0m1n1m2n2ILi128EDF16_fKNS_16TensorDescriptorINS_5TupleIJNS_5EmbedINS2_IJNS_17integral_constantIiLi8EEENS4_IiLi64EEES5_EEENS2_IJNS4_IiLi520EEES5_NS4_IiLi1EEEEEELb0EEEEEENS2_IJNS_8SequenceIJLi0EEEEEEENS2_IJNSD_IJLi1ELi2ELi3EEEEEEESG_NS4_IlLl4152EEEEEKNS1_INS2_IJNS3_INS2_IJNS4_IiLi32EEES6_NS4_IiLi2EEEEEENS2_IJNS4_IiLi130EEESM_S9_EEELb0EEEEEESF_SH_SG_NS4_IlLl4158EEEEELi32ELi8ELi2ELi2ELi8EE6MWavesE@rel32@hi+16
	s_load_b32 s3, s[12:13], 0x0
	s_wait_kmcnt 0x0
	s_lshl_b32 s10, s3, 5
	s_getpc_b64 s[12:13]
	s_sext_i32_i16 s13, s13
	s_add_co_u32 s12, s12, _ZN2ck45BlockwiseGemmDpp_ak0mak1_bk0nbk1_m0n0m1n1m2n2ILi128EDF16_fKNS_16TensorDescriptorINS_5TupleIJNS_5EmbedINS2_IJNS_17integral_constantIiLi8EEENS4_IiLi64EEES5_EEENS2_IJNS4_IiLi520EEES5_NS4_IiLi1EEEEEELb0EEEEEENS2_IJNS_8SequenceIJLi0EEEEEEENS2_IJNSD_IJLi1ELi2ELi3EEEEEEESG_NS4_IlLl4152EEEEEKNS1_INS2_IJNS3_INS2_IJNS4_IiLi32EEES6_NS4_IiLi2EEEEEENS2_IJNS4_IiLi130EEESM_S9_EEELb0EEEEEESF_SH_SG_NS4_IlLl4158EEEEELi32ELi8ELi2ELi2ELi8EE6NWavesE@rel32@lo+8
	s_add_co_ci_u32 s13, s13, _ZN2ck45BlockwiseGemmDpp_ak0mak1_bk0nbk1_m0n0m1n1m2n2ILi128EDF16_fKNS_16TensorDescriptorINS_5TupleIJNS_5EmbedINS2_IJNS_17integral_constantIiLi8EEENS4_IiLi64EEES5_EEENS2_IJNS4_IiLi520EEES5_NS4_IiLi1EEEEEELb0EEEEEENS2_IJNS_8SequenceIJLi0EEEEEEENS2_IJNSD_IJLi1ELi2ELi3EEEEEEESG_NS4_IlLl4152EEEEEKNS1_INS2_IJNS3_INS2_IJNS4_IiLi32EEES6_NS4_IiLi2EEEEEENS2_IJNS4_IiLi130EEESM_S9_EEELb0EEEEEESF_SH_SG_NS4_IlLl4158EEEEELi32ELi8ELi2ELi2ELi8EE6NWavesE@rel32@hi+16
	s_add_co_i32 s1, s1, 63
	s_load_b32 s3, s[12:13], 0x0
	s_ashr_i32 s7, s1, 31
	s_ashr_i32 s13, ttmp9, 31
	s_lshr_b32 s7, s7, 26
	s_delay_alu instid0(SALU_CYCLE_1)
	s_add_co_i32 s1, s1, s7
	s_add_co_i32 s7, s14, 63
	s_ashr_i32 s1, s1, 6
	s_ashr_i32 s12, s7, 31
	s_abs_i32 s14, ttmp9
	s_lshr_b32 s12, s12, 26
	s_delay_alu instid0(SALU_CYCLE_1) | instskip(NEXT) | instid1(SALU_CYCLE_1)
	s_add_co_i32 s7, s7, s12
	s_ashr_i32 s7, s7, 6
	s_delay_alu instid0(SALU_CYCLE_1) | instskip(NEXT) | instid1(SALU_CYCLE_1)
	s_mul_i32 s12, s7, s1
	s_abs_i32 s12, s12
	s_delay_alu instid0(SALU_CYCLE_1)
	s_cvt_f32_u32 s15, s12
	s_sub_co_i32 s22, 0, s12
	s_wait_kmcnt 0x0
	s_lshl_b32 s3, s3, 3
	s_wait_alu 0xfffe
	v_rcp_iflag_f32_e32 v0, s15
	s_delay_alu instid0(TRANS32_DEP_1) | instskip(SKIP_2) | instid1(SALU_CYCLE_2)
	v_readfirstlane_b32 s15, v0
	s_mul_f32 s15, s15, 0x4f7ffffe
	s_wait_alu 0xfffe
	s_cvt_u32_f32 s15, s15
	s_wait_alu 0xfffe
	s_delay_alu instid0(SALU_CYCLE_2)
	s_mul_i32 s22, s22, s15
	s_wait_alu 0xfffe
	s_mul_hi_u32 s22, s15, s22
	s_wait_alu 0xfffe
	s_add_co_i32 s15, s15, s22
	s_wait_alu 0xfffe
	s_mul_hi_u32 s15, s14, s15
	s_wait_alu 0xfffe
	s_mul_i32 s15, s15, s12
	s_wait_alu 0xfffe
	s_sub_co_i32 s14, s14, s15
	s_wait_alu 0xfffe
	s_sub_co_i32 s15, s14, s12
	s_cmp_ge_u32 s14, s12
	s_wait_alu 0xfffe
	s_cselect_b32 s14, s15, s14
	s_wait_alu 0xfffe
	s_sub_co_i32 s15, s14, s12
	s_cmp_ge_u32 s14, s12
	s_wait_alu 0xfffe
	s_cselect_b32 s12, s15, s14
	s_abs_i32 s15, s7
	s_xor_b32 s12, s12, s13
	s_wait_alu 0xfffe
	s_cvt_f32_u32 s22, s15
	s_sub_co_i32 s23, 0, s15
	s_sub_co_i32 s12, s12, s13
	s_wait_alu 0xfffe
	v_rcp_iflag_f32_e32 v0, s22
	s_abs_i32 s14, s12
	s_xor_b32 s13, s12, s7
	s_delay_alu instid0(SALU_CYCLE_1) | instskip(NEXT) | instid1(TRANS32_DEP_1)
	s_ashr_i32 s13, s13, 31
	v_readfirstlane_b32 s22, v0
	s_mul_f32 s22, s22, 0x4f7ffffe
	s_wait_alu 0xfffe
	s_delay_alu instid0(SALU_CYCLE_2) | instskip(SKIP_1) | instid1(SALU_CYCLE_2)
	s_cvt_u32_f32 s22, s22
	s_wait_alu 0xfffe
	s_mul_i32 s23, s23, s22
	s_wait_alu 0xfffe
	s_mul_hi_u32 s23, s22, s23
	s_wait_alu 0xfffe
	s_add_co_i32 s22, s22, s23
	s_wait_alu 0xfffe
	s_mul_hi_u32 s22, s14, s22
	s_wait_alu 0xfffe
	s_mul_i32 s23, s22, s15
	s_wait_alu 0xfffe
	s_sub_co_i32 s14, s14, s23
	s_add_co_i32 s23, s22, 1
	s_wait_alu 0xfffe
	s_sub_co_i32 s24, s14, s15
	s_cmp_ge_u32 s14, s15
	s_cselect_b32 s22, s23, s22
	s_cselect_b32 s14, s24, s14
	s_wait_alu 0xfffe
	s_add_co_i32 s23, s22, 1
	s_cmp_ge_u32 s14, s15
	s_wait_alu 0xfffe
	s_cselect_b32 s14, s23, s22
	s_wait_alu 0xfffe
	s_xor_b32 s14, s14, s13
	s_wait_alu 0xfffe
	s_sub_co_i32 s13, s14, s13
	s_lshr_b32 s14, s1, 29
	s_wait_alu 0xfffe
	s_add_co_i32 s14, s1, s14
	s_wait_alu 0xfffe
	s_and_b32 s14, s14, -8
	s_wait_alu 0xfffe
	s_sub_co_i32 s1, s1, s14
	s_cmp_ge_i32 s13, s14
	s_mul_i32 s14, s13, s7
	s_cselect_b32 s1, s1, 8
	s_wait_alu 0xfffe
	s_sub_co_i32 s12, s12, s14
	s_abs_i32 s15, s1
	s_ashr_i32 s14, s13, 31
	s_wait_alu 0xfffe
	s_cvt_f32_u32 s22, s15
	s_lshr_b32 s14, s14, 29
	s_sub_co_i32 s23, 0, s15
	s_wait_alu 0xfffe
	s_add_co_i32 s14, s13, s14
	v_rcp_iflag_f32_e32 v0, s22
	s_wait_alu 0xfffe
	s_and_b32 s14, s14, -8
	s_wait_alu 0xfffe
	s_sub_co_i32 s13, s13, s14
	s_delay_alu instid0(SALU_CYCLE_1) | instskip(NEXT) | instid1(SALU_CYCLE_1)
	s_mul_i32 s7, s13, s7
	s_add_co_i32 s7, s7, s12
	s_delay_alu instid0(SALU_CYCLE_1) | instskip(NEXT) | instid1(TRANS32_DEP_1)
	s_abs_i32 s13, s7
	v_readfirstlane_b32 s22, v0
	s_xor_b32 s12, s7, s1
	v_lshlrev_b32_e32 v0, 1, v3
	s_ashr_i32 s12, s12, 31
	s_mul_f32 s22, s22, 0x4f7ffffe
	s_delay_alu instid0(VALU_DEP_1)
	v_and_b32_e32 v26, 6, v0
	v_lshrrev_b32_e32 v0, 1, v3
	s_wait_alu 0xfffe
	s_cvt_u32_f32 s22, s22
	v_lshrrev_b32_e32 v4, 2, v3
	scratch_store_b32 off, v3, off offset:32 ; 4-byte Folded Spill
	s_wait_alu 0xfffe
	s_mul_i32 s23, s23, s22
	v_and_b32_e32 v1, 0x7e, v0
	s_wait_alu 0xfffe
	s_mul_hi_u32 s23, s22, s23
	s_wait_alu 0xfffe
	s_add_co_i32 s22, s22, s23
	s_wait_alu 0xfffe
	s_mul_hi_u32 s22, s13, s22
	s_wait_alu 0xfffe
	s_mul_i32 s23, s22, s15
	s_wait_alu 0xfffe
	s_sub_co_i32 s13, s13, s23
	s_add_co_i32 s23, s22, 1
	s_sub_co_i32 s24, s13, s15
	s_cmp_ge_u32 s13, s15
	s_wait_alu 0xfffe
	s_cselect_b32 s22, s23, s22
	s_cselect_b32 s13, s24, s13
	s_wait_alu 0xfffe
	s_add_co_i32 s23, s22, 1
	s_cmp_ge_u32 s13, s15
	s_mov_b32 s15, 0x31004000
	s_wait_alu 0xfffe
	s_cselect_b32 s13, s23, s22
	s_lshl_b32 s6, s6, 1
	s_xor_b32 s13, s13, s12
	s_and_b32 s5, s5, 0xffff
	s_sub_co_i32 s12, s13, s12
	s_and_b32 s13, s17, 0xffff
	s_mul_i32 s1, s12, s1
	s_delay_alu instid0(SALU_CYCLE_1)
	s_sub_co_i32 s1, s7, s1
	s_lshl_b32 s7, s12, 6
	s_add_co_i32 s14, s14, s1
	s_mov_b32 s12, s16
	s_wait_alu 0xfffe
	s_lshl_b32 s22, s14, 6
	s_lshl_b32 s14, s0, 1
	s_wait_alu 0xfffe
	v_add_nc_u32_e32 v11, s22, v1
	s_delay_alu instid0(VALU_DEP_1) | instskip(SKIP_2) | instid1(VALU_DEP_3)
	v_mul_lo_u32 v0, v11, s11
	v_cmp_gt_i32_e32 vcc_lo, s8, v11
	v_add_nc_u32_e32 v27, s7, v1
	v_lshl_add_u32 v15, v26, 3, v0
	v_lshlrev_b32_e32 v0, 3, v3
	s_delay_alu instid0(VALU_DEP_2) | instskip(NEXT) | instid1(VALU_DEP_2)
	v_add_nc_u32_e32 v12, 8, v15
	v_and_b32_e32 v2, 24, v0
	v_mul_lo_u32 v0, v27, s20
	s_delay_alu instid0(VALU_DEP_3) | instskip(SKIP_1) | instid1(VALU_DEP_3)
	v_lshlrev_b32_e32 v7, 1, v12
	v_add_lshl_u32 v12, v12, s11, 1
	v_lshl_add_u32 v28, v2, 1, v0
	v_and_b32_e32 v0, 31, v3
	v_and_b32_e32 v3, 7, v3
	buffer_load_b128 v[7:10], v7, s[12:15], null offen
	v_add_nc_u32_e32 v29, 14, v28
	v_and_or_b32 v0, v4, 32, v0
	v_and_or_b32 v37, v4, 24, v3
	v_lshlrev_b32_e32 v3, 1, v15
	scratch_store_b32 off, v4, off offset:36 ; 4-byte Folded Spill
	v_lshlrev_b32_e32 v30, 1, v29
	v_add_lshl_u32 v29, v29, s20, 1
	v_add_lshl_u32 v15, v15, s11, 1
	buffer_load_b128 v[3:6], v3, s[12:15], null offen
	v_lshlrev_b32_e32 v23, 1, v28
	v_add_lshl_u32 v28, v28, s20, 1
	v_add_nc_u32_e32 v32, -8, v29
	v_add_nc_u32_e32 v34, -16, v29
	;; [unrolled: 1-line block ×4, first 2 shown]
	scratch_store_b64 off, v[37:38], off offset:40 ; 8-byte Folded Spill
	v_subrev_nc_u32_e32 v35, 20, v29
	v_lshlrev_b32_e32 v0, 4, v0
	buffer_load_b128 v[15:18], v15, s[12:15], null offen
	s_wait_loadcnt 0x2
	v_cndmask_b32_e32 v10, 0, v10, vcc_lo
	v_cmp_gt_i32_e64 s1, s9, v27
	v_or_b32_e32 v27, 1, v27
	v_cndmask_b32_e32 v7, 0, v7, vcc_lo
	v_dual_cndmask_b32 v9, 0, v9 :: v_dual_cndmask_b32 v8, 0, v8
	s_wait_loadcnt 0x1
	v_cndmask_b32_e32 v4, 0, v4, vcc_lo
	v_or_b32_e32 v11, 1, v11
	v_cndmask_b32_e32 v6, 0, v6, vcc_lo
	v_lshlrev_b32_e32 v36, 4, v1
	v_lshlrev_b32_e32 v1, 2, v1
	v_cndmask_b32_e32 v5, 0, v5, vcc_lo
	v_cmp_gt_i32_e64 s0, s8, v11
	buffer_load_b128 v[11:14], v12, s[12:15], null offen
	s_lshl_b32 s14, s2, 1
	s_and_b32 s13, s19, 0xffff
	s_mov_b32 s12, s18
	s_clause 0x5
	buffer_load_b128 v[19:22], v23, s[12:15], null offen
	buffer_load_b96 v[23:25], v23, s[12:15], null offen offset:16
	buffer_load_b32 v30, v30, s[12:15], null offen
	buffer_load_b32 v32, v32, s[12:15], null offen
	;; [unrolled: 1-line block ×4, first 2 shown]
	v_cmp_gt_i32_e64 s2, s9, v27
	buffer_load_b32 v27, v29, s[12:15], null offen
	v_subrev_nc_u32_e32 v29, 24, v29
	s_clause 0x2
	buffer_load_b32 v31, v31, s[12:15], null offen
	buffer_load_b32 v33, v33, s[12:15], null offen
	;; [unrolled: 1-line block ×3, first 2 shown]
	v_cndmask_b32_e32 v3, 0, v3, vcc_lo
	buffer_load_b32 v29, v29, s[12:15], null offen
	v_mad_u32_u24 v26, 0x410, v26, v36
	v_mad_u32_u24 v1, 0x104, v2, v1
	s_wait_loadcnt 0xc
	v_cndmask_b32_e64 v18, 0, v18, s0
	v_cndmask_b32_e64 v17, 0, v17, s0
	;; [unrolled: 1-line block ×4, first 2 shown]
	v_add_nc_u32_e32 v2, 0x2174, v1
	s_wait_loadcnt 0xb
	v_cndmask_b32_e64 v14, 0, v14, s0
	v_cndmask_b32_e64 v13, 0, v13, s0
	;; [unrolled: 1-line block ×4, first 2 shown]
	ds_store_b128 v26, v[3:6]
	ds_store_b128 v26, v[7:10] offset:1040
	ds_store_b128 v26, v[11:14] offset:1056
	;; [unrolled: 1-line block ×3, first 2 shown]
	s_wait_loadcnt 0xa
	v_cndmask_b32_e64 v3, 0, v19, s1
	v_cndmask_b32_e64 v11, 0, v20, s1
	v_cndmask_b32_e64 v5, 0, v21, s1
	s_wait_loadcnt 0x9
	v_cndmask_b32_e64 v7, 0, v23, s1
	v_cndmask_b32_e64 v9, 0, v25, s1
	s_wait_loadcnt 0x8
	v_cndmask_b32_e64 v14, 0, v30, s1
	s_wait_loadcnt 0x4
	;; [unrolled: 2-line block ×4, first 2 shown]
	v_cndmask_b32_e64 v8, 0, v33, s2
	v_add_nc_u32_e32 v19, 0x237c, v1
	v_add_nc_u32_e32 v20, 0x2584, v1
	;; [unrolled: 1-line block ×4, first 2 shown]
	v_cndmask_b32_e64 v12, 0, v22, s1
	v_cndmask_b32_e64 v13, 0, v24, s1
	v_cndmask_b32_e64 v16, 0, v32, s2
	v_cndmask_b32_e64 v17, 0, v34, s2
	s_wait_loadcnt 0x0
	v_cndmask_b32_e64 v18, 0, v29, s2
	v_cndmask_b32_e64 v6, 0, v35, s2
	v_cndmask_b32_e64 v4, 0, v28, s2
	ds_store_2addr_b32 v21, v14, v15 offset1:1
	ds_store_2addr_b32 v20, v13, v16 offset1:1
	ds_store_2addr_b64 v1, v[7:8], v[9:10] offset0:144 offset1:209
	ds_store_2addr_b32 v19, v12, v17 offset1:1
	ds_store_2addr_b32 v2, v11, v18 offset1:1
	ds_store_2addr_b64 v1, v[3:4], v[5:6] offset0:14 offset1:79
	s_wait_dscnt 0x0
	s_barrier_signal -1
	s_barrier_wait -1
	scratch_store_b32 off, v0, off offset:112 ; 4-byte Folded Spill
	ds_load_b128 v[29:32], v0
	ds_load_b128 v[25:28], v0 offset:1040
	ds_load_b128 v[21:24], v0 offset:2080
	;; [unrolled: 1-line block ×7, first 2 shown]
	v_lshlrev_b32_e32 v0, 2, v37
	s_lshr_b32 s0, s7, 5
	s_mov_b32 s7, s15
	s_delay_alu instid0(VALU_DEP_1)
	v_add_nc_u32_e32 v33, 0x2000, v0
	ds_load_2addr_b32 v[98:99], v33 offset0:28 offset1:60
	ds_load_2addr_b32 v[210:211], v33 offset0:93 offset1:125
	;; [unrolled: 1-line block ×4, first 2 shown]
	v_add_nc_u32_e32 v33, 0x2400, v0
	ds_load_2addr_b32 v[216:217], v33 offset0:32 offset1:64
	ds_load_2addr_b32 v[218:219], v33 offset0:97 offset1:129
	;; [unrolled: 1-line block ×3, first 2 shown]
	s_wait_dscnt 0xe
	v_dual_mov_b32 v4, v29 :: v_dual_add_nc_u32 v33, 0x2600, v0
	v_mov_b32_e32 v100, v29
	v_dual_mov_b32 v146, v29 :: v_dual_mov_b32 v101, v30
	ds_load_2addr_b32 v[222:223], v33 offset0:99 offset1:131
	v_add_nc_u32_e32 v33, 0x2800, v0
	ds_load_2addr_b32 v[224:225], v33 offset0:36 offset1:68
	ds_load_2addr_b32 v[226:227], v33 offset0:101 offset1:133
	;; [unrolled: 1-line block ×3, first 2 shown]
	v_add_nc_u32_e32 v33, 0x2a00, v0
	v_mov_b32_dpp v4, v4 dpp8:[0,0,0,0,0,0,0,0]
	v_mov_b32_dpp v100, v100 dpp8:[6,6,6,6,6,6,6,6]
	;; [unrolled: 1-line block ×3, first 2 shown]
	v_mov_b32_e32 v115, v29
	ds_load_2addr_b32 v[230:231], v33 offset0:103 offset1:135
	v_add_nc_u32_e32 v33, 0x2c00, v0
	ds_load_2addr_b32 v[232:233], v33 offset0:40 offset1:72
	ds_load_2addr_b32 v[234:235], v33 offset0:105 offset1:137
	;; [unrolled: 1-line block ×3, first 2 shown]
	v_add_nc_u32_e32 v33, 0x2e00, v0
	s_wait_dscnt 0xe
	v_dot2_f32_f16 v102, v4, v98, 0
	v_dot2_f32_f16 v108, v100, v98, 0
	;; [unrolled: 1-line block ×3, first 2 shown]
	v_mov_b32_dpp v101, v101 dpp8:[2,2,2,2,2,2,2,2]
	ds_load_2addr_b32 v[238:239], v33 offset0:107 offset1:139
	v_add_nc_u32_e32 v33, 0x3000, v0
	ds_load_2addr_b32 v[240:241], v33 offset0:44 offset1:76
	ds_load_2addr_b32 v[242:243], v33 offset0:109 offset1:141
	;; [unrolled: 1-line block ×3, first 2 shown]
	v_add_nc_u32_e32 v33, 0x3200, v0
	v_mov_b32_dpp v115, v115 dpp8:[3,3,3,3,3,3,3,3]
	s_wait_dscnt 0x11
	v_dot2_f32_f16 v112, v101, v210, v104
	v_dual_mov_b32 v104, v9 :: v_dual_mov_b32 v95, v246
	ds_load_2addr_b32 v[44:45], v33 offset0:111 offset1:143
	v_add_nc_u32_e32 v33, 0x3400, v0
	ds_load_2addr_b32 v[37:38], v33 offset0:48 offset1:80
	ds_load_2addr_b32 v[42:43], v33 offset0:113 offset1:145
	;; [unrolled: 1-line block ×3, first 2 shown]
	v_add_nc_u32_e32 v33, 0x3600, v0
	v_dot2_f32_f16 v105, v115, v98, 0
	v_mov_b32_e32 v94, v11
	v_mov_b32_dpp v104, v104 dpp8:[2,2,2,2,2,2,2,2]
	v_mov_b32_e32 v254, v10
	ds_load_2addr_b32 v[46:47], v33 offset0:115 offset1:147
	v_add_nc_u32_e32 v33, 0x3800, v0
	ds_load_2addr_b32 v[58:59], v33 offset0:52 offset1:84
	ds_load_2addr_b32 v[56:57], v33 offset0:117 offset1:149
	;; [unrolled: 1-line block ×3, first 2 shown]
	v_add_nc_u32_e32 v33, 0x3a00, v0
	v_mov_b32_dpp v94, v94 dpp8:[1,1,1,1,1,1,1,1]
	v_mov_b32_e32 v86, v12
	v_dual_mov_b32 v248, v9 :: v_dual_mov_b32 v97, v246
	ds_load_2addr_b32 v[50:51], v33 offset0:119 offset1:151
	v_add_nc_u32_e32 v33, 0x3c00, v0
	ds_load_2addr_b32 v[35:36], v33 offset0:56 offset1:88
	ds_load_2addr_b32 v[2:3], v33 offset0:121 offset1:153
	;; [unrolled: 1-line block ×3, first 2 shown]
	scratch_store_b32 off, v4, off offset:80 ; 4-byte Folded Spill
	s_wait_dscnt 0xc
	scratch_store_b64 off, v[48:49], off offset:292 ; 8-byte Folded Spill
	v_mov_b32_e32 v4, v29
	s_wait_dscnt 0x8
	scratch_store_b64 off, v[40:41], off offset:324 ; 8-byte Folded Spill
	v_mov_b32_dpp v86, v86 dpp8:[2,2,2,2,2,2,2,2]
	s_wait_dscnt 0x6
	scratch_store_b64 off, v[58:59], off offset:340 ; 8-byte Folded Spill
	v_mov_b32_e32 v250, v9
	v_mov_b32_dpp v4, v4 dpp8:[1,1,1,1,1,1,1,1]
	v_mov_b32_dpp v248, v248 dpp8:[3,3,3,3,3,3,3,3]
	v_dual_mov_b32 v96, v10 :: v_dual_mov_b32 v91, v245
	s_delay_alu instid0(VALU_DEP_4)
	v_mov_b32_dpp v250, v250 dpp8:[5,5,5,5,5,5,5,5]
	s_clause 0x1
	scratch_store_b32 off, v4, off offset:84
	scratch_store_b64 off, v[44:45], off offset:300
	v_dot2_f32_f16 v103, v4, v98, 0
	v_mov_b32_e32 v4, v29
	s_wait_dscnt 0x5
	s_clause 0x1
	scratch_store_b64 off, v[56:57], off offset:348
	scratch_store_b64 off, v[37:38], off offset:308
	v_dual_mov_b32 v252, v10 :: v_dual_mov_b32 v147, v246
	v_mov_b32_dpp v4, v4 dpp8:[4,4,4,4,4,4,4,4]
	v_mov_b32_dpp v96, v96 dpp8:[6,6,6,6,6,6,6,6]
	s_wait_dscnt 0x4
	scratch_store_b64 off, v[54:55], off offset:356 ; 8-byte Folded Spill
	v_mov_b32_e32 v89, v245
	v_mov_b32_dpp v252, v252 dpp8:[0,0,0,0,0,0,0,0]
	scratch_store_b32 off, v4, off offset:88 ; 4-byte Folded Spill
	v_dot2_f32_f16 v106, v4, v98, 0
	v_mov_b32_e32 v4, v29
	v_mov_b32_dpp v29, v29 dpp8:[7,7,7,7,7,7,7,7]
	v_mov_b32_e32 v92, v11
	v_mov_b32_e32 v90, v11
	;; [unrolled: 1-line block ×3, first 2 shown]
	v_mov_b32_dpp v4, v4 dpp8:[5,5,5,5,5,5,5,5]
	v_dot2_f32_f16 v109, v29, v98, 0
	s_wait_dscnt 0x3
	scratch_store_b64 off, v[50:51], off offset:364 ; 8-byte Folded Spill
	v_mov_b32_e32 v87, v244
	v_mov_b32_dpp v92, v92 dpp8:[3,3,3,3,3,3,3,3]
	s_clause 0x1
	scratch_store_b32 off, v4, off offset:92
	scratch_store_b64 off, v[42:43], off offset:316
	v_dot2_f32_f16 v107, v4, v98, 0
	v_mov_b32_e32 v4, v30
	v_mov_b32_dpp v90, v90 dpp8:[5,5,5,5,5,5,5,5]
	v_mov_b32_dpp v88, v88 dpp8:[0,0,0,0,0,0,0,0]
	scratch_store_b64 off, v[46:47], off offset:332 ; 8-byte Folded Spill
	v_mov_b32_e32 v84, v12
	v_mov_b32_dpp v4, v4 dpp8:[0,0,0,0,0,0,0,0]
	v_mov_b32_e32 v82, v12
	v_mov_b32_e32 v80, v12
	;; [unrolled: 1-line block ×3, first 2 shown]
	v_mov_b32_dpp v84, v84 dpp8:[4,4,4,4,4,4,4,4]
	scratch_store_b32 off, v4, off offset:96 ; 4-byte Folded Spill
	v_dot2_f32_f16 v110, v4, v210, v102
	v_mov_b32_e32 v4, v30
	v_dual_mov_b32 v102, v30 :: v_dual_mov_b32 v85, v244
	s_wait_dscnt 0x1
	scratch_store_b64 off, v[2:3], off offset:380 ; 8-byte Folded Spill
	v_mov_b32_e32 v3, v246
	v_mov_b32_dpp v4, v4 dpp8:[1,1,1,1,1,1,1,1]
	v_mov_b32_dpp v102, v102 dpp8:[3,3,3,3,3,3,3,3]
	;; [unrolled: 1-line block ×5, first 2 shown]
	scratch_store_b32 off, v4, off offset:100 ; 4-byte Folded Spill
	v_dot2_f32_f16 v111, v4, v210, v103
	v_mov_b32_e32 v4, v30
	v_dot2_f32_f16 v113, v102, v210, v105
	v_mov_b32_e32 v76, v5
	v_mov_b32_e32 v74, v5
	;; [unrolled: 1-line block ×3, first 2 shown]
	v_mov_b32_dpp v4, v4 dpp8:[4,4,4,4,4,4,4,4]
	v_mov_b32_e32 v70, v5
	v_dual_mov_b32 v68, v5 :: v_dual_mov_b32 v83, v244
	v_mov_b32_dpp v78, v78 dpp8:[1,1,1,1,1,1,1,1]
	scratch_store_b32 off, v4, off offset:104 ; 4-byte Folded Spill
	v_dot2_f32_f16 v114, v4, v210, v106
	v_mov_b32_e32 v4, v30
	v_mov_b32_e32 v106, v9
	v_mov_b32_dpp v76, v76 dpp8:[2,2,2,2,2,2,2,2]
	v_mov_b32_dpp v74, v74 dpp8:[3,3,3,3,3,3,3,3]
	;; [unrolled: 1-line block ×4, first 2 shown]
	v_mov_b32_e32 v51, v244
	v_mov_b32_dpp v106, v106 dpp8:[0,0,0,0,0,0,0,0]
	v_mov_b32_dpp v70, v70 dpp8:[5,5,5,5,5,5,5,5]
	;; [unrolled: 1-line block ×3, first 2 shown]
	scratch_store_b32 off, v4, off offset:108 ; 4-byte Folded Spill
	v_dot2_f32_f16 v116, v4, v210, v107
	v_mov_b32_e32 v4, v30
	v_mov_b32_dpp v30, v30 dpp8:[7,7,7,7,7,7,7,7]
	v_dual_mov_b32 v81, v244 :: v_dual_mov_b32 v66, v6
	v_mov_b32_e32 v64, v6
	s_delay_alu instid0(VALU_DEP_4) | instskip(NEXT) | instid1(VALU_DEP_4)
	v_mov_b32_dpp v4, v4 dpp8:[6,6,6,6,6,6,6,6]
	v_dot2_f32_f16 v118, v30, v210, v109
	v_mov_b32_e32 v62, v6
	v_mov_b32_e32 v60, v6
	v_mov_b32_dpp v66, v66 dpp8:[0,0,0,0,0,0,0,0]
	scratch_store_b32 off, v4, off offset:116 ; 4-byte Folded Spill
	v_dot2_f32_f16 v117, v4, v210, v108
	v_mov_b32_e32 v4, v31
	v_mov_b32_e32 v108, v16
	v_mov_b32_dpp v64, v64 dpp8:[1,1,1,1,1,1,1,1]
	v_mov_b32_dpp v62, v62 dpp8:[2,2,2,2,2,2,2,2]
	;; [unrolled: 1-line block ×5, first 2 shown]
	v_mov_b32_e32 v52, v8
	v_mov_b32_dpp v81, v81 dpp8:[0,0,0,0,0,0,0,0]
	v_mov_b32_dpp v51, v51 dpp8:[1,1,1,1,1,1,1,1]
	scratch_store_b32 off, v4, off offset:120 ; 4-byte Folded Spill
	v_dot2_f32_f16 v119, v4, v212, v110
	v_dual_mov_b32 v4, v31 :: v_dual_mov_b32 v79, v8
	v_mov_b32_e32 v110, v16
	v_mov_b32_dpp v52, v52 dpp8:[6,6,6,6,6,6,6,6]
	v_mov_b32_dpp v83, v83 dpp8:[2,2,2,2,2,2,2,2]
	s_delay_alu instid0(VALU_DEP_4)
	v_mov_b32_dpp v4, v4 dpp8:[1,1,1,1,1,1,1,1]
	v_mov_b32_dpp v79, v79 dpp8:[5,5,5,5,5,5,5,5]
	;; [unrolled: 1-line block ×5, first 2 shown]
	s_clause 0x1
	scratch_store_b32 off, v4, off offset:124
	scratch_store_b64 off, v[35:36], off offset:372
	v_dot2_f32_f16 v120, v4, v212, v111
	v_mov_b32_e32 v4, v31
	v_mov_b32_dpp v89, v89 dpp8:[1,1,1,1,1,1,1,1]
	v_mov_b32_dpp v91, v91 dpp8:[3,3,3,3,3,3,3,3]
	v_mov_b32_e32 v38, v246
	v_mov_b32_e32 v36, v246
	v_mov_b32_dpp v4, v4 dpp8:[2,2,2,2,2,2,2,2]
	v_mov_b32_dpp v95, v95 dpp8:[0,0,0,0,0,0,0,0]
	v_mov_b32_e32 v77, v8
	v_mov_b32_dpp v38, v38 dpp8:[1,1,1,1,1,1,1,1]
	v_mov_b32_dpp v97, v97 dpp8:[2,2,2,2,2,2,2,2]
	scratch_store_b32 off, v4, off offset:128 ; 4-byte Folded Spill
	v_dot2_f32_f16 v121, v4, v212, v112
	v_mov_b32_e32 v4, v31
	v_mov_b32_e32 v112, v16
	v_mov_b32_dpp v77, v77 dpp8:[3,3,3,3,3,3,3,3]
	v_mov_b32_dpp v36, v36 dpp8:[3,3,3,3,3,3,3,3]
	;; [unrolled: 1-line block ×6, first 2 shown]
	s_wait_dscnt 0x0
	scratch_store_b64 off, v[33:34], off offset:388 ; 8-byte Folded Spill
	v_dot2_f32_f16 v146, v146, v99, 0
	scratch_store_b32 off, v4, off offset:132 ; 4-byte Folded Spill
	v_dot2_f32_f16 v122, v4, v212, v113
	v_mov_b32_e32 v4, v31
	v_dot2_f32_f16 v115, v115, v99, 0
	v_dot2_f32_f16 v100, v100, v99, 0
	v_mov_b32_e32 v55, v8
	v_dot2_f32_f16 v29, v29, v99, 0
	v_mov_b32_dpp v4, v4 dpp8:[4,4,4,4,4,4,4,4]
	v_dot2_f32_f16 v101, v101, v211, v146
	v_dot2_f32_f16 v102, v102, v211, v115
	v_mov_b32_e32 v75, v8
	v_mov_b32_dpp v55, v55 dpp8:[2,2,2,2,2,2,2,2]
	scratch_store_b32 off, v4, off offset:136 ; 4-byte Folded Spill
	v_dot2_f32_f16 v123, v4, v212, v114
	v_mov_b32_e32 v4, v31
	v_mov_b32_e32 v114, v15
	v_mov_b32_dpp v75, v75 dpp8:[1,1,1,1,1,1,1,1]
	v_dot2_f32_f16 v29, v30, v211, v29
	v_mov_b32_e32 v73, v7
	v_mov_b32_dpp v4, v4 dpp8:[5,5,5,5,5,5,5,5]
	v_mov_b32_dpp v114, v114 dpp8:[6,6,6,6,6,6,6,6]
	v_mov_b32_e32 v57, v7
	v_mov_b32_e32 v71, v7
	v_mov_b32_dpp v73, v73 dpp8:[6,6,6,6,6,6,6,6]
	scratch_store_b32 off, v4, off offset:140 ; 4-byte Folded Spill
	v_dot2_f32_f16 v124, v4, v212, v116
	v_mov_b32_e32 v4, v31
	v_mov_b32_dpp v31, v31 dpp8:[7,7,7,7,7,7,7,7]
	v_mov_b32_e32 v116, v15
	v_mov_b32_dpp v57, v57 dpp8:[5,5,5,5,5,5,5,5]
	;; [unrolled: 2-line block ×3, first 2 shown]
	v_dot2_f32_f16 v126, v31, v212, v118
	v_mov_b32_e32 v118, v15
	v_mov_b32_dpp v116, v116 dpp8:[3,3,3,3,3,3,3,3]
	v_mov_b32_dpp v71, v71 dpp8:[4,4,4,4,4,4,4,4]
	scratch_store_b32 off, v4, off offset:144 ; 4-byte Folded Spill
	v_dot2_f32_f16 v125, v4, v212, v117
	v_mov_b32_e32 v4, v32
	v_mov_b32_dpp v118, v118 dpp8:[1,1,1,1,1,1,1,1]
	v_dot2_f32_f16 v29, v31, v213, v29
	v_mov_b32_dpp v69, v69 dpp8:[2,2,2,2,2,2,2,2]
	v_mov_b32_e32 v59, v7
	v_mov_b32_dpp v4, v4 dpp8:[0,0,0,0,0,0,0,0]
	v_mov_b32_e32 v67, v7
	v_mov_b32_e32 v65, v6
	;; [unrolled: 1-line block ×3, first 2 shown]
	v_mov_b32_dpp v59, v59 dpp8:[1,1,1,1,1,1,1,1]
	scratch_store_b32 off, v4, off offset:148 ; 4-byte Folded Spill
	v_dot2_f32_f16 v127, v4, v214, v119
	v_mov_b32_e32 v4, v32
	v_mov_b32_dpp v65, v65 dpp8:[5,5,5,5,5,5,5,5]
	v_mov_b32_dpp v67, v67 dpp8:[0,0,0,0,0,0,0,0]
	v_mov_b32_dpp v93, v93 dpp8:[5,5,5,5,5,5,5,5]
	v_mov_b32_e32 v119, v15
	v_mov_b32_dpp v4, v4 dpp8:[1,1,1,1,1,1,1,1]
	v_mov_b32_e32 v117, v15
	v_mov_b32_e32 v113, v15
	;; [unrolled: 1-line block ×3, first 2 shown]
	v_mov_b32_dpp v119, v119 dpp8:[2,2,2,2,2,2,2,2]
	scratch_store_b32 off, v4, off offset:152 ; 4-byte Folded Spill
	v_dot2_f32_f16 v128, v4, v214, v120
	v_mov_b32_e32 v4, v32
	v_mov_b32_e32 v120, v14
	v_mov_b32_dpp v117, v117 dpp8:[4,4,4,4,4,4,4,4]
	v_mov_b32_dpp v113, v113 dpp8:[5,5,5,5,5,5,5,5]
	v_mov_b32_dpp v111, v111 dpp8:[0,0,0,0,0,0,0,0]
	v_mov_b32_dpp v4, v4 dpp8:[2,2,2,2,2,2,2,2]
	v_mov_b32_dpp v120, v120 dpp8:[6,6,6,6,6,6,6,6]
	v_mov_b32_e32 v109, v16
	v_mov_b32_e32 v107, v16
	;; [unrolled: 1-line block ×3, first 2 shown]
	scratch_store_b32 off, v4, off offset:156 ; 4-byte Folded Spill
	v_dot2_f32_f16 v129, v4, v214, v121
	v_dual_mov_b32 v4, v32 :: v_dual_mov_b32 v121, v15
	v_mov_b32_dpp v109, v109 dpp8:[2,2,2,2,2,2,2,2]
	v_mov_b32_dpp v15, v15 dpp8:[7,7,7,7,7,7,7,7]
	v_mov_b32_dpp v107, v107 dpp8:[4,4,4,4,4,4,4,4]
	s_delay_alu instid0(VALU_DEP_4)
	v_mov_b32_dpp v4, v4 dpp8:[3,3,3,3,3,3,3,3]
	v_mov_b32_dpp v121, v121 dpp8:[0,0,0,0,0,0,0,0]
	v_mov_b32_e32 v105, v16
	v_mov_b32_dpp v16, v16 dpp8:[7,7,7,7,7,7,7,7]
	v_mov_b32_dpp v249, v249 dpp8:[4,4,4,4,4,4,4,4]
	scratch_store_b32 off, v4, off offset:160 ; 4-byte Folded Spill
	v_dot2_f32_f16 v130, v4, v214, v122
	v_mov_b32_e32 v4, v32
	v_dual_mov_b32 v122, v14 :: v_dual_mov_b32 v251, v9
	v_mov_b32_e32 v253, v10
	v_mov_b32_dpp v105, v105 dpp8:[6,6,6,6,6,6,6,6]
	s_delay_alu instid0(VALU_DEP_4) | instskip(NEXT) | instid1(VALU_DEP_4)
	v_mov_b32_dpp v4, v4 dpp8:[4,4,4,4,4,4,4,4]
	v_mov_b32_dpp v122, v122 dpp8:[4,4,4,4,4,4,4,4]
	;; [unrolled: 1-line block ×4, first 2 shown]
	v_mov_b32_e32 v255, v10
	scratch_store_b32 off, v4, off offset:164 ; 4-byte Folded Spill
	v_dot2_f32_f16 v131, v4, v214, v123
	v_dual_mov_b32 v4, v32 :: v_dual_mov_b32 v123, v14
	v_mov_b32_e32 v103, v10
	v_mov_b32_dpp v255, v255 dpp8:[3,3,3,3,3,3,3,3]
	v_mov_b32_e32 v63, v6
	s_delay_alu instid0(VALU_DEP_4)
	v_mov_b32_dpp v4, v4 dpp8:[5,5,5,5,5,5,5,5]
	v_mov_b32_dpp v123, v123 dpp8:[5,5,5,5,5,5,5,5]
	;; [unrolled: 1-line block ×3, first 2 shown]
	v_mov_b32_e32 v61, v6
	v_mov_b32_dpp v63, v63 dpp8:[3,3,3,3,3,3,3,3]
	scratch_store_b32 off, v4, off offset:168 ; 4-byte Folded Spill
	v_dot2_f32_f16 v132, v4, v214, v124
	v_mov_b32_e32 v4, v32
	v_mov_b32_dpp v32, v32 dpp8:[7,7,7,7,7,7,7,7]
	v_mov_b32_e32 v124, v14
	v_mov_b32_dpp v6, v6 dpp8:[7,7,7,7,7,7,7,7]
	v_mov_b32_dpp v61, v61 dpp8:[4,4,4,4,4,4,4,4]
	;; [unrolled: 1-line block ×3, first 2 shown]
	v_dot2_f32_f16 v134, v32, v214, v126
	v_mov_b32_dpp v124, v124 dpp8:[2,2,2,2,2,2,2,2]
	v_mov_b32_e32 v126, v14
	v_dot2_f32_f16 v29, v32, v215, v29
	scratch_store_b32 off, v4, off offset:172 ; 4-byte Folded Spill
	v_dot2_f32_f16 v133, v4, v214, v125
	v_dual_mov_b32 v4, v25 :: v_dual_mov_b32 v125, v14
	v_mov_b32_dpp v126, v126 dpp8:[0,0,0,0,0,0,0,0]
	s_delay_alu instid0(VALU_DEP_2) | instskip(NEXT) | instid1(VALU_DEP_3)
	v_mov_b32_dpp v4, v4 dpp8:[0,0,0,0,0,0,0,0]
	v_mov_b32_dpp v125, v125 dpp8:[3,3,3,3,3,3,3,3]
	scratch_store_b32 off, v4, off offset:176 ; 4-byte Folded Spill
	v_dot2_f32_f16 v135, v4, v216, v127
	v_dual_mov_b32 v4, v25 :: v_dual_mov_b32 v127, v14
	v_mov_b32_dpp v14, v14 dpp8:[7,7,7,7,7,7,7,7]
	s_delay_alu instid0(VALU_DEP_2) | instskip(NEXT) | instid1(VALU_DEP_3)
	v_mov_b32_dpp v4, v4 dpp8:[1,1,1,1,1,1,1,1]
	v_mov_b32_dpp v127, v127 dpp8:[1,1,1,1,1,1,1,1]
	scratch_store_b32 off, v4, off offset:180 ; 4-byte Folded Spill
	v_dot2_f32_f16 v136, v4, v216, v128
	v_mov_b32_e32 v4, v25
	v_mov_b32_e32 v128, v13
	s_delay_alu instid0(VALU_DEP_2) | instskip(NEXT) | instid1(VALU_DEP_2)
	v_mov_b32_dpp v4, v4 dpp8:[2,2,2,2,2,2,2,2]
	v_mov_b32_dpp v128, v128 dpp8:[5,5,5,5,5,5,5,5]
	scratch_store_b32 off, v4, off offset:184 ; 4-byte Folded Spill
	v_dot2_f32_f16 v137, v4, v216, v129
	v_dual_mov_b32 v4, v25 :: v_dual_mov_b32 v129, v13
	s_delay_alu instid0(VALU_DEP_1) | instskip(NEXT) | instid1(VALU_DEP_2)
	v_mov_b32_dpp v4, v4 dpp8:[3,3,3,3,3,3,3,3]
	v_mov_b32_dpp v129, v129 dpp8:[6,6,6,6,6,6,6,6]
	scratch_store_b32 off, v4, off offset:188 ; 4-byte Folded Spill
	v_dot2_f32_f16 v138, v4, v216, v130
	v_mov_b32_e32 v4, v25
	v_mov_b32_e32 v130, v13
	s_delay_alu instid0(VALU_DEP_2) | instskip(NEXT) | instid1(VALU_DEP_2)
	v_mov_b32_dpp v4, v4 dpp8:[4,4,4,4,4,4,4,4]
	v_mov_b32_dpp v130, v130 dpp8:[3,3,3,3,3,3,3,3]
	scratch_store_b32 off, v4, off offset:192 ; 4-byte Folded Spill
	v_dot2_f32_f16 v139, v4, v216, v131
	v_dual_mov_b32 v4, v25 :: v_dual_mov_b32 v131, v13
	s_delay_alu instid0(VALU_DEP_1) | instskip(NEXT) | instid1(VALU_DEP_2)
	v_mov_b32_dpp v4, v4 dpp8:[5,5,5,5,5,5,5,5]
	v_mov_b32_dpp v131, v131 dpp8:[4,4,4,4,4,4,4,4]
	scratch_store_b32 off, v4, off offset:196 ; 4-byte Folded Spill
	v_dot2_f32_f16 v140, v4, v216, v132
	v_mov_b32_e32 v4, v25
	v_mov_b32_dpp v25, v25 dpp8:[7,7,7,7,7,7,7,7]
	v_mov_b32_e32 v132, v13
	s_delay_alu instid0(VALU_DEP_3) | instskip(NEXT) | instid1(VALU_DEP_3)
	v_mov_b32_dpp v4, v4 dpp8:[6,6,6,6,6,6,6,6]
	v_dot2_f32_f16 v142, v25, v216, v134
	s_delay_alu instid0(VALU_DEP_3)
	v_mov_b32_dpp v132, v132 dpp8:[1,1,1,1,1,1,1,1]
	v_mov_b32_e32 v134, v20
	v_dot2_f32_f16 v25, v25, v217, v29
	scratch_store_b32 off, v4, off offset:200 ; 4-byte Folded Spill
	v_dot2_f32_f16 v141, v4, v216, v133
	v_dual_mov_b32 v4, v26 :: v_dual_mov_b32 v133, v13
	v_mov_b32_dpp v134, v134 dpp8:[6,6,6,6,6,6,6,6]
	s_delay_alu instid0(VALU_DEP_2) | instskip(NEXT) | instid1(VALU_DEP_3)
	v_mov_b32_dpp v4, v4 dpp8:[0,0,0,0,0,0,0,0]
	v_mov_b32_dpp v133, v133 dpp8:[2,2,2,2,2,2,2,2]
	scratch_store_b32 off, v4, off offset:204 ; 4-byte Folded Spill
	v_dot2_f32_f16 v143, v4, v218, v135
	v_dual_mov_b32 v4, v26 :: v_dual_mov_b32 v135, v13
	v_mov_b32_dpp v13, v13 dpp8:[7,7,7,7,7,7,7,7]
	s_delay_alu instid0(VALU_DEP_2) | instskip(NEXT) | instid1(VALU_DEP_3)
	v_mov_b32_dpp v4, v4 dpp8:[1,1,1,1,1,1,1,1]
	v_mov_b32_dpp v135, v135 dpp8:[0,0,0,0,0,0,0,0]
	scratch_store_b32 off, v4, off offset:208 ; 4-byte Folded Spill
	v_dot2_f32_f16 v144, v4, v218, v136
	v_mov_b32_e32 v4, v26
	v_mov_b32_e32 v136, v20
	s_delay_alu instid0(VALU_DEP_2) | instskip(NEXT) | instid1(VALU_DEP_2)
	v_mov_b32_dpp v4, v4 dpp8:[2,2,2,2,2,2,2,2]
	v_mov_b32_dpp v136, v136 dpp8:[4,4,4,4,4,4,4,4]
	scratch_store_b32 off, v4, off offset:212 ; 4-byte Folded Spill
	v_dot2_f32_f16 v145, v4, v218, v137
	v_dual_mov_b32 v4, v26 :: v_dual_mov_b32 v137, v20
	s_delay_alu instid0(VALU_DEP_1) | instskip(NEXT) | instid1(VALU_DEP_2)
	v_mov_b32_dpp v4, v4 dpp8:[3,3,3,3,3,3,3,3]
	v_mov_b32_dpp v137, v137 dpp8:[5,5,5,5,5,5,5,5]
	scratch_store_b32 off, v4, off offset:216 ; 4-byte Folded Spill
	v_dot2_f32_f16 v148, v4, v218, v138
	v_mov_b32_e32 v4, v26
	v_mov_b32_e32 v138, v20
	s_delay_alu instid0(VALU_DEP_2) | instskip(NEXT) | instid1(VALU_DEP_2)
	v_mov_b32_dpp v4, v4 dpp8:[4,4,4,4,4,4,4,4]
	v_mov_b32_dpp v138, v138 dpp8:[2,2,2,2,2,2,2,2]
	scratch_store_b32 off, v4, off offset:220 ; 4-byte Folded Spill
	v_dot2_f32_f16 v149, v4, v218, v139
	v_dual_mov_b32 v4, v26 :: v_dual_mov_b32 v139, v20
	s_delay_alu instid0(VALU_DEP_1) | instskip(NEXT) | instid1(VALU_DEP_2)
	v_mov_b32_dpp v4, v4 dpp8:[5,5,5,5,5,5,5,5]
	v_mov_b32_dpp v139, v139 dpp8:[3,3,3,3,3,3,3,3]
	scratch_store_b32 off, v4, off offset:224 ; 4-byte Folded Spill
	v_dot2_f32_f16 v150, v4, v218, v140
	v_mov_b32_e32 v4, v26
	v_mov_b32_dpp v26, v26 dpp8:[7,7,7,7,7,7,7,7]
	v_mov_b32_e32 v140, v20
	s_delay_alu instid0(VALU_DEP_3) | instskip(NEXT) | instid1(VALU_DEP_3)
	v_mov_b32_dpp v4, v4 dpp8:[6,6,6,6,6,6,6,6]
	v_dot2_f32_f16 v152, v26, v218, v142
	v_mov_b32_e32 v142, v27
	s_delay_alu instid0(VALU_DEP_4)
	v_mov_b32_dpp v140, v140 dpp8:[0,0,0,0,0,0,0,0]
	v_dot2_f32_f16 v25, v26, v219, v25
	scratch_store_b32 off, v4, off offset:228 ; 4-byte Folded Spill
	v_dot2_f32_f16 v151, v4, v218, v141
	v_dual_mov_b32 v4, v27 :: v_dual_mov_b32 v141, v20
	v_mov_b32_dpp v142, v142 dpp8:[5,5,5,5,5,5,5,5]
	v_mov_b32_dpp v20, v20 dpp8:[7,7,7,7,7,7,7,7]
	s_delay_alu instid0(VALU_DEP_3) | instskip(NEXT) | instid1(VALU_DEP_4)
	v_mov_b32_dpp v4, v4 dpp8:[0,0,0,0,0,0,0,0]
	v_mov_b32_dpp v141, v141 dpp8:[1,1,1,1,1,1,1,1]
	s_delay_alu instid0(VALU_DEP_4)
	v_dot2_f32_f16 v158, v142, v220, v150
	v_mov_b32_e32 v150, v28
	scratch_store_b32 off, v4, off offset:232 ; 4-byte Folded Spill
	v_dot2_f32_f16 v153, v4, v220, v143
	v_dual_mov_b32 v4, v27 :: v_dual_mov_b32 v143, v27
	v_mov_b32_dpp v150, v150 dpp8:[4,4,4,4,4,4,4,4]
	s_delay_alu instid0(VALU_DEP_2) | instskip(NEXT) | instid1(VALU_DEP_3)
	v_mov_b32_dpp v4, v4 dpp8:[1,1,1,1,1,1,1,1]
	v_mov_b32_dpp v143, v143 dpp8:[6,6,6,6,6,6,6,6]
	scratch_store_b32 off, v4, off offset:236 ; 4-byte Folded Spill
	v_dot2_f32_f16 v154, v4, v220, v144
	v_mov_b32_e32 v4, v27
	v_dot2_f32_f16 v159, v143, v220, v151
	v_dual_mov_b32 v144, v28 :: v_dual_mov_b32 v151, v28
	s_delay_alu instid0(VALU_DEP_3) | instskip(NEXT) | instid1(VALU_DEP_2)
	v_mov_b32_dpp v4, v4 dpp8:[2,2,2,2,2,2,2,2]
	v_mov_b32_dpp v144, v144 dpp8:[0,0,0,0,0,0,0,0]
	s_delay_alu instid0(VALU_DEP_3)
	v_mov_b32_dpp v151, v151 dpp8:[5,5,5,5,5,5,5,5]
	scratch_store_b32 off, v4, off offset:240 ; 4-byte Folded Spill
	v_dot2_f32_f16 v155, v4, v220, v145
	v_dual_mov_b32 v4, v27 :: v_dual_mov_b32 v145, v28
	v_dot2_f32_f16 v161, v144, v222, v153
	v_dot2_f32_f16 v166, v151, v222, v158
	v_mov_b32_e32 v153, v21
	s_delay_alu instid0(VALU_DEP_4) | instskip(SKIP_2) | instid1(VALU_DEP_4)
	v_mov_b32_dpp v4, v4 dpp8:[3,3,3,3,3,3,3,3]
	v_mov_b32_dpp v145, v145 dpp8:[1,1,1,1,1,1,1,1]
	v_mov_b32_e32 v158, v21
	v_mov_b32_dpp v153, v153 dpp8:[0,0,0,0,0,0,0,0]
	scratch_store_b32 off, v4, off offset:244 ; 4-byte Folded Spill
	v_dot2_f32_f16 v156, v4, v220, v148
	v_mov_b32_e32 v4, v27
	v_mov_b32_dpp v27, v27 dpp8:[7,7,7,7,7,7,7,7]
	v_mov_b32_e32 v148, v28
	v_dot2_f32_f16 v162, v145, v222, v154
	v_mov_b32_e32 v154, v21
	v_mov_b32_dpp v4, v4 dpp8:[4,4,4,4,4,4,4,4]
	v_dot2_f32_f16 v160, v27, v220, v152
	v_mov_b32_e32 v152, v28
	v_mov_b32_dpp v148, v148 dpp8:[2,2,2,2,2,2,2,2]
	v_dot2_f32_f16 v161, v153, v224, v161
	v_dot2_f32_f16 v157, v4, v220, v149
	v_mov_b32_e32 v149, v28
	v_mov_b32_dpp v152, v152 dpp8:[6,6,6,6,6,6,6,6]
	v_mov_b32_dpp v28, v28 dpp8:[7,7,7,7,7,7,7,7]
	v_dot2_f32_f16 v163, v148, v222, v155
	v_dot2_f32_f16 v165, v150, v222, v157
	v_mov_b32_dpp v149, v149 dpp8:[3,3,3,3,3,3,3,3]
	v_dot2_f32_f16 v167, v152, v222, v159
	v_dot2_f32_f16 v160, v28, v222, v160
	v_mov_b32_e32 v155, v21
	v_dual_mov_b32 v157, v21 :: v_dual_add_nc_u32 v0, 0x3e00, v0
	v_mov_b32_e32 v159, v21
	v_dot2_f32_f16 v164, v149, v222, v156
	v_mov_b32_e32 v156, v21
	v_mov_b32_dpp v21, v21 dpp8:[7,7,7,7,7,7,7,7]
	v_mov_b32_dpp v154, v154 dpp8:[1,1,1,1,1,1,1,1]
	;; [unrolled: 1-line block ×5, first 2 shown]
	v_dot2_f32_f16 v168, v21, v224, v160
	v_mov_b32_e32 v160, v22
	v_dot2_f32_f16 v162, v154, v224, v162
	v_dot2_f32_f16 v163, v155, v224, v163
	v_dot2_f32_f16 v164, v156, v224, v164
	v_dot2_f32_f16 v165, v157, v224, v165
	v_mov_b32_dpp v160, v160 dpp8:[0,0,0,0,0,0,0,0]
	v_mov_b32_dpp v158, v158 dpp8:[5,5,5,5,5,5,5,5]
	;; [unrolled: 1-line block ×3, first 2 shown]
	scratch_store_b32 off, v4, off offset:248 ; 4-byte Folded Spill
	v_mov_b32_e32 v4, v9
	v_dot2_f32_f16 v169, v160, v226, v161
	v_mov_b32_e32 v161, v22
	v_dot2_f32_f16 v166, v158, v224, v166
	v_dot2_f32_f16 v167, v159, v224, v167
	v_mov_b32_dpp v4, v4 dpp8:[1,1,1,1,1,1,1,1]
	v_mov_b32_dpp v9, v9 dpp8:[7,7,7,7,7,7,7,7]
	;; [unrolled: 1-line block ×3, first 2 shown]
	ds_load_2addr_b32 v[0:1], v0 offset0:123 offset1:155
	v_dot2_f32_f16 v25, v27, v221, v25
	v_dot2_f32_f16 v170, v161, v226, v162
	v_mov_b32_e32 v162, v22
	s_delay_alu instid0(VALU_DEP_3) | instskip(NEXT) | instid1(VALU_DEP_2)
	v_dot2_f32_f16 v25, v28, v223, v25
	v_mov_b32_dpp v162, v162 dpp8:[2,2,2,2,2,2,2,2]
	s_delay_alu instid0(VALU_DEP_2) | instskip(NEXT) | instid1(VALU_DEP_2)
	v_dot2_f32_f16 v21, v21, v225, v25
	v_dot2_f32_f16 v171, v162, v226, v163
	v_mov_b32_e32 v163, v22
	s_delay_alu instid0(VALU_DEP_1) | instskip(NEXT) | instid1(VALU_DEP_1)
	v_mov_b32_dpp v163, v163 dpp8:[3,3,3,3,3,3,3,3]
	v_dot2_f32_f16 v172, v163, v226, v164
	v_mov_b32_e32 v164, v22
	s_delay_alu instid0(VALU_DEP_1) | instskip(NEXT) | instid1(VALU_DEP_1)
	v_mov_b32_dpp v164, v164 dpp8:[4,4,4,4,4,4,4,4]
	;; [unrolled: 4-line block ×3, first 2 shown]
	v_dot2_f32_f16 v174, v165, v226, v166
	v_mov_b32_e32 v166, v22
	v_mov_b32_dpp v22, v22 dpp8:[7,7,7,7,7,7,7,7]
	s_delay_alu instid0(VALU_DEP_2) | instskip(NEXT) | instid1(VALU_DEP_2)
	v_mov_b32_dpp v166, v166 dpp8:[6,6,6,6,6,6,6,6]
	v_dot2_f32_f16 v176, v22, v226, v168
	v_mov_b32_e32 v168, v23
	v_dot2_f32_f16 v21, v22, v227, v21
	s_delay_alu instid0(VALU_DEP_4) | instskip(SKIP_1) | instid1(VALU_DEP_4)
	v_dot2_f32_f16 v175, v166, v226, v167
	v_mov_b32_e32 v167, v23
	v_mov_b32_dpp v168, v168 dpp8:[1,1,1,1,1,1,1,1]
	s_delay_alu instid0(VALU_DEP_2) | instskip(NEXT) | instid1(VALU_DEP_2)
	v_mov_b32_dpp v167, v167 dpp8:[0,0,0,0,0,0,0,0]
	v_dot2_f32_f16 v178, v168, v228, v170
	v_mov_b32_e32 v170, v23
	s_delay_alu instid0(VALU_DEP_3) | instskip(SKIP_1) | instid1(VALU_DEP_3)
	v_dot2_f32_f16 v177, v167, v228, v169
	v_mov_b32_e32 v169, v23
	v_mov_b32_dpp v170, v170 dpp8:[3,3,3,3,3,3,3,3]
	s_delay_alu instid0(VALU_DEP_2) | instskip(NEXT) | instid1(VALU_DEP_2)
	v_mov_b32_dpp v169, v169 dpp8:[2,2,2,2,2,2,2,2]
	v_dot2_f32_f16 v180, v170, v228, v172
	v_mov_b32_e32 v172, v23
	s_delay_alu instid0(VALU_DEP_3) | instskip(SKIP_1) | instid1(VALU_DEP_3)
	;; [unrolled: 8-line block ×3, first 2 shown]
	v_dot2_f32_f16 v181, v171, v228, v173
	v_mov_b32_e32 v173, v23
	v_mov_b32_dpp v174, v174 dpp8:[0,0,0,0,0,0,0,0]
	v_mov_b32_dpp v23, v23 dpp8:[7,7,7,7,7,7,7,7]
	s_delay_alu instid0(VALU_DEP_3) | instskip(NEXT) | instid1(VALU_DEP_3)
	v_mov_b32_dpp v173, v173 dpp8:[6,6,6,6,6,6,6,6]
	v_dot2_f32_f16 v185, v174, v230, v177
	v_mov_b32_e32 v177, v24
	s_delay_alu instid0(VALU_DEP_4)
	v_dot2_f32_f16 v184, v23, v228, v176
	v_mov_b32_e32 v176, v24
	v_dot2_f32_f16 v183, v173, v228, v175
	v_mov_b32_e32 v175, v24
	v_mov_b32_dpp v177, v177 dpp8:[3,3,3,3,3,3,3,3]
	v_dot2_f32_f16 v21, v23, v229, v21
	v_mov_b32_dpp v176, v176 dpp8:[2,2,2,2,2,2,2,2]
	s_delay_alu instid0(VALU_DEP_4) | instskip(NEXT) | instid1(VALU_DEP_4)
	v_mov_b32_dpp v175, v175 dpp8:[1,1,1,1,1,1,1,1]
	v_dot2_f32_f16 v188, v177, v230, v180
	v_mov_b32_e32 v180, v24
	s_delay_alu instid0(VALU_DEP_4)
	v_dot2_f32_f16 v187, v176, v230, v179
	v_mov_b32_e32 v179, v24
	v_dot2_f32_f16 v186, v175, v230, v178
	v_mov_b32_e32 v178, v24
	v_mov_b32_dpp v180, v180 dpp8:[6,6,6,6,6,6,6,6]
	v_mov_b32_dpp v24, v24 dpp8:[7,7,7,7,7,7,7,7]
	;; [unrolled: 1-line block ×3, first 2 shown]
	s_delay_alu instid0(VALU_DEP_4) | instskip(NEXT) | instid1(VALU_DEP_4)
	v_mov_b32_dpp v178, v178 dpp8:[4,4,4,4,4,4,4,4]
	v_dot2_f32_f16 v191, v180, v230, v183
	v_mov_b32_e32 v183, v17
	s_delay_alu instid0(VALU_DEP_4)
	v_dot2_f32_f16 v190, v179, v230, v182
	v_dot2_f32_f16 v192, v24, v230, v184
	;; [unrolled: 1-line block ×3, first 2 shown]
	v_mov_b32_e32 v181, v17
	v_mov_b32_dpp v183, v183 dpp8:[2,2,2,2,2,2,2,2]
	v_mov_b32_e32 v182, v17
	v_mov_b32_e32 v184, v17
	v_dot2_f32_f16 v21, v24, v231, v21
	v_mov_b32_dpp v181, v181 dpp8:[0,0,0,0,0,0,0,0]
	v_dot2_f32_f16 v195, v183, v232, v187
	v_mov_b32_e32 v187, v17
	v_mov_b32_dpp v182, v182 dpp8:[1,1,1,1,1,1,1,1]
	v_mov_b32_dpp v184, v184 dpp8:[3,3,3,3,3,3,3,3]
	v_dot2_f32_f16 v193, v181, v232, v185
	v_mov_b32_e32 v185, v17
	v_mov_b32_dpp v187, v187 dpp8:[6,6,6,6,6,6,6,6]
	v_dot2_f32_f16 v194, v182, v232, v186
	v_dot2_f32_f16 v196, v184, v232, v188
	v_mov_b32_e32 v186, v17
	v_mov_b32_dpp v185, v185 dpp8:[4,4,4,4,4,4,4,4]
	v_dot2_f32_f16 v199, v187, v232, v191
	v_mov_b32_e32 v191, v18
	v_mov_b32_dpp v17, v17 dpp8:[7,7,7,7,7,7,7,7]
	v_mov_b32_dpp v186, v186 dpp8:[5,5,5,5,5,5,5,5]
	v_dot2_f32_f16 v197, v185, v232, v189
	v_mov_b32_e32 v189, v18
	v_mov_b32_dpp v191, v191 dpp8:[3,3,3,3,3,3,3,3]
	v_dot2_f32_f16 v200, v17, v232, v192
	v_mov_b32_e32 v192, v18
	v_dot2_f32_f16 v198, v186, v232, v190
	v_mov_b32_dpp v189, v189 dpp8:[1,1,1,1,1,1,1,1]
	v_dot2_f32_f16 v204, v191, v234, v196
	v_mov_b32_e32 v196, v19
	v_mov_b32_e32 v190, v18
	v_mov_b32_dpp v192, v192 dpp8:[4,4,4,4,4,4,4,4]
	v_dot2_f32_f16 v202, v189, v234, v194
	v_mov_b32_e32 v188, v18
	v_mov_b32_dpp v196, v196 dpp8:[1,1,1,1,1,1,1,1]
	v_mov_b32_dpp v190, v190 dpp8:[2,2,2,2,2,2,2,2]
	v_dot2_f32_f16 v205, v192, v234, v197
	v_mov_b32_e32 v197, v19
	v_mov_b32_dpp v188, v188 dpp8:[0,0,0,0,0,0,0,0]
	v_dot2_f32_f16 v202, v196, v236, v202
	v_dot2_f32_f16 v203, v190, v234, v195
	v_mov_b32_e32 v194, v18
	v_mov_b32_dpp v197, v197 dpp8:[2,2,2,2,2,2,2,2]
	v_dot2_f32_f16 v201, v188, v234, v193
	v_dot2_f32_f16 v202, v141, v238, v202
	v_mov_b32_e32 v193, v18
	v_mov_b32_e32 v195, v19
	v_dot2_f32_f16 v203, v197, v236, v203
	v_mov_b32_dpp v18, v18 dpp8:[7,7,7,7,7,7,7,7]
	v_dot2_f32_f16 v202, v132, v240, v202
	v_mov_b32_dpp v193, v193 dpp8:[5,5,5,5,5,5,5,5]
	v_mov_b32_dpp v195, v195 dpp8:[0,0,0,0,0,0,0,0]
	v_dot2_f32_f16 v203, v138, v238, v203
	v_dot2_f32_f16 v208, v18, v234, v200
	;; [unrolled: 1-line block ×6, first 2 shown]
	v_mov_b32_e32 v198, v19
	v_dot2_f32_f16 v202, v118, v48, v202
	v_dual_mov_b32 v200, v19 :: v_dual_mov_b32 v201, v19
	s_delay_alu instid0(VALU_DEP_4) | instskip(NEXT) | instid1(VALU_DEP_4)
	v_dot2_f32_f16 v203, v124, v242, v203
	v_mov_b32_dpp v198, v198 dpp8:[3,3,3,3,3,3,3,3]
	s_delay_alu instid0(VALU_DEP_4) | instskip(NEXT) | instid1(VALU_DEP_4)
	v_dot2_f32_f16 v202, v112, v44, v202
	v_mov_b32_dpp v200, v200 dpp8:[5,5,5,5,5,5,5,5]
	v_mov_b32_dpp v201, v201 dpp8:[6,6,6,6,6,6,6,6]
	v_dot2_f32_f16 v203, v119, v48, v203
	v_dot2_f32_f16 v204, v198, v236, v204
	;; [unrolled: 1-line block ×13, first 2 shown]
	v_mov_b32_e32 v202, v11
	v_dot2_f32_f16 v206, v128, v240, v206
	v_dot2_f32_f16 v203, v254, v42, v203
	;; [unrolled: 1-line block ×4, first 2 shown]
	v_mov_b32_dpp v202, v202 dpp8:[2,2,2,2,2,2,2,2]
	v_dot2_f32_f16 v206, v123, v242, v206
	v_dot2_f32_f16 v17, v17, v233, v21
	;; [unrolled: 1-line block ×10, first 2 shown]
	v_mov_b32_e32 v203, v12
	v_mov_b32_dpp v194, v194 dpp8:[6,6,6,6,6,6,6,6]
	v_dot2_f32_f16 v206, v108, v44, v206
	v_dot2_f32_f16 v209, v106, v37, v209
	;; [unrolled: 1-line block ×3, first 2 shown]
	v_mov_b32_dpp v203, v203 dpp8:[3,3,3,3,3,3,3,3]
	v_dot2_f32_f16 v207, v194, v234, v199
	v_mov_b32_e32 v199, v19
	v_mov_b32_dpp v19, v19 dpp8:[7,7,7,7,7,7,7,7]
	v_dot2_f32_f16 v206, v250, v37, v206
	v_dot2_f32_f16 v209, v252, v42, v209
	;; [unrolled: 1-line block ×3, first 2 shown]
	v_mov_b32_dpp v199, v199 dpp8:[4,4,4,4,4,4,4,4]
	v_dot2_f32_f16 v208, v19, v236, v208
	v_dot2_f32_f16 v204, v255, v42, v204
	;; [unrolled: 1-line block ×7, first 2 shown]
	v_mov_b32_e32 v204, v11
	v_dot2_f32_f16 v207, v129, v240, v207
	v_dot2_f32_f16 v205, v136, v238, v205
	;; [unrolled: 1-line block ×4, first 2 shown]
	v_mov_b32_dpp v204, v204 dpp8:[4,4,4,4,4,4,4,4]
	v_dot2_f32_f16 v207, v120, v242, v207
	v_dot2_f32_f16 v205, v131, v240, v205
	;; [unrolled: 1-line block ×13, first 2 shown]
	v_mov_b32_e32 v48, v244
	v_dot2_f32_f16 v49, v55, v50, v49
	v_dot2_f32_f16 v207, v251, v37, v207
	;; [unrolled: 1-line block ×4, first 2 shown]
	v_mov_b32_dpp v48, v48 dpp8:[5,5,5,5,5,5,5,5]
	v_mov_b32_e32 v44, v245
	v_dot2_f32_f16 v39, v96, v42, v207
	v_dot2_f32_f16 v205, v249, v37, v205
	;; [unrolled: 1-line block ×4, first 2 shown]
	v_mov_b32_dpp v44, v44 dpp8:[2,2,2,2,2,2,2,2]
	s_delay_alu instid0(VALU_DEP_4) | instskip(SKIP_2) | instid1(VALU_DEP_4)
	v_dot2_f32_f16 v37, v103, v42, v205
	v_mov_b32_e32 v205, v10
	v_mov_b32_dpp v10, v10 dpp8:[7,7,7,7,7,7,7,7]
	v_dot2_f32_f16 v49, v44, v2, v49
	v_dot2_f32_f16 v17, v20, v239, v17
	;; [unrolled: 1-line block ×3, first 2 shown]
	v_mov_b32_dpp v205, v205 dpp8:[5,5,5,5,5,5,5,5]
	v_dot2_f32_f16 v207, v10, v42, v208
	v_mov_b32_e32 v208, v11
	v_dot2_f32_f16 v49, v97, v33, v49
	v_dot2_f32_f16 v37, v84, v46, v37
	;; [unrolled: 1-line block ×3, first 2 shown]
	v_mov_b32_e32 v42, v245
	v_mov_b32_dpp v208, v208 dpp8:[0,0,0,0,0,0,0,0]
	v_dot2_f32_f16 v13, v13, v241, v17
	v_dot2_f32_f16 v37, v72, v58, v37
	v_dot2_f32_f16 v45, v90, v40, v206
	v_mov_b32_e32 v206, v11
	v_dot2_f32_f16 v209, v208, v40, v209
	v_mov_b32_dpp v11, v11 dpp8:[7,7,7,7,7,7,7,7]
	v_dot2_f32_f16 v37, v61, v56, v37
	v_dot2_f32_f16 v45, v82, v46, v45
	v_mov_b32_dpp v206, v206 dpp8:[6,6,6,6,6,6,6,6]
	v_dot2_f32_f16 v47, v88, v46, v209
	v_dot2_f32_f16 v207, v11, v40, v207
	v_mov_b32_e32 v209, v12
	v_mov_b32_dpp v12, v12 dpp8:[7,7,7,7,7,7,7,7]
	v_dot2_f32_f16 v39, v206, v40, v39
	v_dot2_f32_f16 v45, v70, v58, v45
	;; [unrolled: 1-line block ×3, first 2 shown]
	v_mov_b32_dpp v209, v209 dpp8:[1,1,1,1,1,1,1,1]
	v_dot2_f32_f16 v53, v12, v46, v207
	v_mov_b32_e32 v207, v5
	v_dot2_f32_f16 v39, v80, v46, v39
	v_mov_b32_dpp v5, v5 dpp8:[7,7,7,7,7,7,7,7]
	v_dot2_f32_f16 v41, v209, v46, v41
	v_dot2_f32_f16 v45, v65, v56, v45
	v_mov_b32_dpp v207, v207 dpp8:[0,0,0,0,0,0,0,0]
	v_dot2_f32_f16 v39, v68, v58, v39
	v_dot2_f32_f16 v53, v5, v58, v53
	;; [unrolled: 1-line block ×5, first 2 shown]
	v_mov_b32_e32 v58, v7
	v_dot2_f32_f16 v39, v60, v56, v39
	v_dot2_f32_f16 v41, v64, v56, v41
	;; [unrolled: 1-line block ×4, first 2 shown]
	v_mov_b32_dpp v58, v58 dpp8:[3,3,3,3,3,3,3,3]
	v_mov_b32_dpp v7, v7 dpp8:[7,7,7,7,7,7,7,7]
	v_dot2_f32_f16 v41, v59, v54, v41
	v_dot2_f32_f16 v39, v73, v54, v39
	;; [unrolled: 1-line block ×5, first 2 shown]
	v_mov_b32_e32 v56, v8
	v_mov_b32_e32 v54, v8
	v_mov_b32_dpp v8, v8 dpp8:[7,7,7,7,7,7,7,7]
	v_dot2_f32_f16 v41, v75, v50, v41
	v_dot2_f32_f16 v43, v77, v50, v43
	v_mov_b32_dpp v56, v56 dpp8:[0,0,0,0,0,0,0,0]
	v_mov_b32_dpp v54, v54 dpp8:[4,4,4,4,4,4,4,4]
	v_dot2_f32_f16 v45, v79, v50, v45
	v_dot2_f32_f16 v39, v52, v50, v39
	;; [unrolled: 1-line block ×5, first 2 shown]
	v_mov_b32_e32 v50, v244
	v_mov_b32_dpp v244, v244 dpp8:[7,7,7,7,7,7,7,7]
	v_mov_b32_e32 v46, v245
	v_mov_b32_e32 v40, v245
	v_dot2_f32_f16 v47, v81, v35, v47
	v_mov_b32_dpp v50, v50 dpp8:[3,3,3,3,3,3,3,3]
	v_dot2_f32_f16 v41, v51, v35, v41
	v_dot2_f32_f16 v37, v85, v35, v37
	;; [unrolled: 1-line block ×6, first 2 shown]
	v_mov_b32_dpp v46, v46 dpp8:[0,0,0,0,0,0,0,0]
	v_mov_b32_dpp v42, v42 dpp8:[4,4,4,4,4,4,4,4]
	;; [unrolled: 1-line block ×4, first 2 shown]
	v_mov_b32_e32 v35, v246
	v_dot2_f32_f16 v47, v46, v2, v47
	v_dot2_f32_f16 v41, v89, v2, v41
	v_dot2_f32_f16 v43, v91, v2, v43
	v_dot2_f32_f16 v37, v42, v2, v37
	v_dot2_f32_f16 v45, v93, v2, v45
	v_dot2_f32_f16 v39, v40, v2, v39
	v_dot2_f32_f16 v53, v245, v2, v53
	v_mov_b32_dpp v35, v35 dpp8:[4,4,4,4,4,4,4,4]
	v_mov_b32_dpp v246, v246 dpp8:[7,7,7,7,7,7,7,7]
	v_dot2_f32_f16 v47, v95, v33, v47
	v_dot2_f32_f16 v41, v38, v33, v41
	;; [unrolled: 1-line block ×7, first 2 shown]
	v_mov_b32_e32 v33, v247
	v_dot2_f32_f16 v13, v14, v243, v13
	s_delay_alu instid0(VALU_DEP_2) | instskip(SKIP_1) | instid1(VALU_DEP_1)
	v_mov_b32_dpp v33, v33 dpp8:[0,0,0,0,0,0,0,0]
	s_wait_dscnt 0x0
	v_dot2_f32_f16 v47, v33, v0, v47
	scratch_store_b32 off, v47, off offset:76 ; 4-byte Folded Spill
	v_mov_b32_e32 v47, v247
	s_delay_alu instid0(VALU_DEP_1) | instskip(NEXT) | instid1(VALU_DEP_1)
	v_mov_b32_dpp v47, v47 dpp8:[1,1,1,1,1,1,1,1]
	v_dot2_f32_f16 v41, v47, v0, v41
	scratch_store_b32 off, v41, off offset:72 ; 4-byte Folded Spill
	v_mov_b32_e32 v41, v247
	s_delay_alu instid0(VALU_DEP_1) | instskip(NEXT) | instid1(VALU_DEP_1)
	v_mov_b32_dpp v41, v41 dpp8:[2,2,2,2,2,2,2,2]
	;; [unrolled: 5-line block ×5, first 2 shown]
	v_dot2_f32_f16 v45, v37, v0, v45
	scratch_store_b32 off, v45, off offset:56 ; 4-byte Folded Spill
	v_mov_b32_e32 v45, v247
	v_mov_b32_dpp v247, v247 dpp8:[7,7,7,7,7,7,7,7]
	s_delay_alu instid0(VALU_DEP_2) | instskip(NEXT) | instid1(VALU_DEP_1)
	v_mov_b32_dpp v45, v45 dpp8:[6,6,6,6,6,6,6,6]
	v_dot2_f32_f16 v39, v45, v0, v39
	s_clause 0x1
	scratch_store_b64 off, v[0:1], off offset:396
	scratch_store_b32 off, v39, off offset:52
	v_dot2_f32_f16 v39, v247, v0, v53
	s_clause 0x1
	scratch_store_b32 off, v39, off offset:48
	scratch_store_b64 off, v[98:99], off offset:284
	s_clause 0x1
	scratch_load_b32 v0, off, off offset:80 th:TH_LOAD_LU
	scratch_load_b32 v1, off, off offset:92 th:TH_LOAD_LU
	s_clause 0x3
	scratch_store_b64 off, v[210:211], off offset:24
	scratch_store_b64 off, v[212:213], off offset:16
	;; [unrolled: 1-line block ×3, first 2 shown]
	scratch_store_b64 off, v[218:219], off
	scratch_load_b32 v2, off, off offset:96 th:TH_LOAD_LU ; 4-byte Folded Reload
	s_wait_loadcnt 0x2
	v_dot2_f32_f16 v39, v0, v99, 0
	scratch_load_b32 v0, off, off offset:84 th:TH_LOAD_LU ; 4-byte Folded Reload
	s_wait_loadcnt 0x2
	v_dot2_f32_f16 v1, v1, v99, 0
	s_wait_loadcnt 0x1
	v_dot2_f32_f16 v39, v2, v211, v39
	scratch_load_b32 v2, off, off offset:100 th:TH_LOAD_LU ; 4-byte Folded Reload
	s_wait_loadcnt 0x1
	v_dot2_f32_f16 v53, v0, v99, 0
	scratch_load_b32 v0, off, off offset:88 th:TH_LOAD_LU ; 4-byte Folded Reload
	;; [unrolled: 3-line block ×3, first 2 shown]
	s_wait_loadcnt 0x1
	v_dot2_f32_f16 v0, v0, v99, 0
	s_wait_loadcnt 0x0
	s_delay_alu instid0(VALU_DEP_1)
	v_dot2_f32_f16 v98, v2, v211, v0
	scratch_load_b32 v0, off, off offset:108 th:TH_LOAD_LU ; 4-byte Folded Reload
	s_wait_loadcnt 0x0
	v_dot2_f32_f16 v99, v0, v211, v1
	scratch_load_b32 v0, off, off offset:116 th:TH_LOAD_LU ; 4-byte Folded Reload
	s_wait_loadcnt 0x0
	v_dot2_f32_f16 v100, v0, v211, v100
	s_clause 0x1
	scratch_load_b32 v0, off, off offset:120 th:TH_LOAD_LU
	scratch_load_b64 v[210:211], off, off offset:348 th:TH_LOAD_LU
	s_wait_loadcnt 0x1
	v_dot2_f32_f16 v30, v0, v213, v39
	scratch_load_b32 v0, off, off offset:124 th:TH_LOAD_LU ; 4-byte Folded Reload
	s_wait_loadcnt 0x0
	v_dot2_f32_f16 v39, v0, v213, v53
	scratch_load_b32 v0, off, off offset:128 th:TH_LOAD_LU ; 4-byte Folded Reload
	;; [unrolled: 3-line block ×11, first 2 shown]
	v_mov_b32_e32 v101, v214
	s_wait_loadcnt 0x0
	v_dot2_f32_f16 v98, v0, v215, v98
	scratch_load_b32 v0, off, off offset:168 th:TH_LOAD_LU ; 4-byte Folded Reload
	s_wait_loadcnt 0x0
	v_dot2_f32_f16 v99, v0, v215, v99
	scratch_load_b32 v0, off, off offset:172 th:TH_LOAD_LU ; 4-byte Folded Reload
	;; [unrolled: 3-line block ×18, first 2 shown]
	v_dot2_f32_f16 v26, v144, v223, v26
	s_delay_alu instid0(VALU_DEP_1) | instskip(NEXT) | instid1(VALU_DEP_1)
	v_dot2_f32_f16 v26, v153, v225, v26
	v_dot2_f32_f16 v25, v160, v227, v26
	s_delay_alu instid0(VALU_DEP_1) | instskip(NEXT) | instid1(VALU_DEP_1)
	v_dot2_f32_f16 v22, v167, v229, v25
	;; [unrolled: 3-line block ×5, first 2 shown]
	v_dot2_f32_f16 v17, v126, v243, v18
	s_wait_loadcnt 0x0
	v_dot2_f32_f16 v29, v0, v221, v30
	scratch_load_b32 v0, off, off offset:240 th:TH_LOAD_LU ; 4-byte Folded Reload
	v_dot2_f32_f16 v27, v145, v223, v29
	s_delay_alu instid0(VALU_DEP_1) | instskip(NEXT) | instid1(VALU_DEP_1)
	v_dot2_f32_f16 v27, v154, v225, v27
	v_dot2_f32_f16 v26, v161, v227, v27
	scratch_load_b64 v[160:161], off, off offset:292 th:TH_LOAD_LU ; 8-byte Folded Reload
	v_dot2_f32_f16 v25, v168, v229, v26
	s_delay_alu instid0(VALU_DEP_1) | instskip(NEXT) | instid1(VALU_DEP_1)
	v_dot2_f32_f16 v23, v175, v231, v25
	v_dot2_f32_f16 v23, v182, v233, v23
	s_delay_alu instid0(VALU_DEP_1) | instskip(NEXT) | instid1(VALU_DEP_1)
	v_dot2_f32_f16 v22, v189, v235, v23
	;; [unrolled: 3-line block ×3, first 2 shown]
	v_dot2_f32_f16 v19, v132, v241, v19
	s_delay_alu instid0(VALU_DEP_1) | instskip(SKIP_4) | instid1(VALU_DEP_1)
	v_dot2_f32_f16 v18, v127, v243, v19
	s_wait_loadcnt 0x1
	v_dot2_f32_f16 v30, v0, v221, v31
	scratch_load_b32 v0, off, off offset:244 th:TH_LOAD_LU ; 4-byte Folded Reload
	v_dot2_f32_f16 v29, v148, v223, v30
	v_dot2_f32_f16 v28, v155, v225, v29
	scratch_load_b64 v[154:155], off, off offset:316 th:TH_LOAD_LU ; 8-byte Folded Reload
	v_dot2_f32_f16 v27, v162, v227, v28
	s_wait_loadcnt 0x2
	v_dot2_f32_f16 v14, v121, v161, v17
	v_dot2_f32_f16 v17, v118, v161, v18
	;; [unrolled: 1-line block ×4, first 2 shown]
	s_delay_alu instid0(VALU_DEP_1) | instskip(NEXT) | instid1(VALU_DEP_1)
	v_dot2_f32_f16 v25, v176, v231, v26
	v_dot2_f32_f16 v24, v183, v233, v25
	s_delay_alu instid0(VALU_DEP_1) | instskip(NEXT) | instid1(VALU_DEP_1)
	v_dot2_f32_f16 v23, v190, v235, v24
	v_dot2_f32_f16 v22, v197, v237, v23
	;; [unrolled: 3-line block ×4, first 2 shown]
	s_wait_loadcnt 0x1
	v_dot2_f32_f16 v31, v0, v221, v32
	scratch_load_b32 v0, off, off offset:248 th:TH_LOAD_LU ; 4-byte Folded Reload
	v_dot2_f32_f16 v30, v149, v223, v31
	scratch_load_b64 v[148:149], off, off offset:340 th:TH_LOAD_LU ; 8-byte Folded Reload
	v_dot2_f32_f16 v29, v156, v225, v30
	s_delay_alu instid0(VALU_DEP_1) | instskip(NEXT) | instid1(VALU_DEP_1)
	v_dot2_f32_f16 v28, v163, v227, v29
	v_dot2_f32_f16 v27, v170, v229, v28
	s_delay_alu instid0(VALU_DEP_1) | instskip(NEXT) | instid1(VALU_DEP_1)
	v_dot2_f32_f16 v26, v177, v231, v27
	;; [unrolled: 3-line block ×5, first 2 shown]
	v_dot2_f32_f16 v19, v116, v161, v20
	s_wait_loadcnt 0x1
	v_dot2_f32_f16 v32, v0, v221, v39
	v_dot2_f32_f16 v39, v142, v221, v53
	;; [unrolled: 1-line block ×3, first 2 shown]
	s_delay_alu instid0(VALU_DEP_3) | instskip(NEXT) | instid1(VALU_DEP_3)
	v_dot2_f32_f16 v31, v150, v223, v32
	v_dot2_f32_f16 v32, v151, v223, v39
	s_delay_alu instid0(VALU_DEP_3)
	v_dot2_f32_f16 v39, v152, v223, v53
	s_clause 0x1
	scratch_load_b64 v[152:153], off, off offset:324 th:TH_LOAD_LU
	scratch_load_b64 v[150:151], off, off offset:332 th:TH_LOAD_LU
	v_dot2_f32_f16 v30, v157, v225, v31
	v_dot2_f32_f16 v31, v158, v225, v32
	;; [unrolled: 1-line block ×3, first 2 shown]
	s_clause 0x1
	scratch_load_b64 v[158:159], off, off offset:300 th:TH_LOAD_LU
	scratch_load_b64 v[156:157], off, off offset:308 th:TH_LOAD_LU
	v_dot2_f32_f16 v29, v164, v227, v30
	v_dot2_f32_f16 v30, v165, v227, v31
	;; [unrolled: 1-line block ×3, first 2 shown]
	s_delay_alu instid0(VALU_DEP_3) | instskip(NEXT) | instid1(VALU_DEP_3)
	v_dot2_f32_f16 v28, v171, v229, v29
	v_dot2_f32_f16 v29, v172, v229, v30
	s_delay_alu instid0(VALU_DEP_3) | instskip(NEXT) | instid1(VALU_DEP_3)
	v_dot2_f32_f16 v30, v173, v229, v31
	v_dot2_f32_f16 v27, v178, v231, v28
	;; [unrolled: 3-line block ×13, first 2 shown]
	s_delay_alu instid0(VALU_DEP_3)
	v_dot2_f32_f16 v22, v114, v161, v23
	s_wait_loadcnt 0x1
	v_dot2_f32_f16 v14, v111, v159, v14
	v_dot2_f32_f16 v15, v112, v159, v17
	;; [unrolled: 1-line block ×8, first 2 shown]
	s_wait_loadcnt 0x0
	v_dot2_f32_f16 v14, v106, v157, v14
	v_dot2_f32_f16 v15, v4, v157, v15
	;; [unrolled: 1-line block ×46, first 2 shown]
	v_mov_b32_e32 v65, v210
	v_dot2_f32_f16 v15, v60, v211, v16
	v_dot2_f32_f16 v5, v6, v211, v5
	v_mov_b32_e32 v66, v211
	scratch_load_b64 v[210:211], off, off offset:356 th:TH_LOAD_LU ; 8-byte Folded Reload
	s_wait_loadcnt 0x0
	v_dot2_f32_f16 v6, v67, v211, v9
	v_dot2_f32_f16 v9, v59, v211, v10
	;; [unrolled: 1-line block ×7, first 2 shown]
	scratch_load_b64 v[73:74], off, off offset:364 th:TH_LOAD_LU ; 8-byte Folded Reload
	v_mov_b32_e32 v71, v210
	v_dot2_f32_f16 v5, v7, v211, v5
	v_mov_b32_e32 v72, v211
	scratch_load_b64 v[210:211], off, off offset:396 th:TH_LOAD_LU ; 8-byte Folded Reload
	s_wait_loadcnt 0x1
	v_dot2_f32_f16 v7, v75, v74, v9
	scratch_load_b64 v[75:76], off, off offset:372 th:TH_LOAD_LU ; 8-byte Folded Reload
	v_dot2_f32_f16 v9, v55, v74, v10
	v_dot2_f32_f16 v10, v77, v74, v11
	scratch_load_b64 v[77:78], off, off offset:380 th:TH_LOAD_LU ; 8-byte Folded Reload
	v_dot2_f32_f16 v11, v54, v74, v12
	;; [unrolled: 3-line block ×3, first 2 shown]
	v_dot2_f32_f16 v5, v8, v74, v5
	v_dot2_f32_f16 v13, v52, v74, v14
	s_wait_loadcnt 0x2
	s_delay_alu instid0(VALU_DEP_3)
	v_dot2_f32_f16 v6, v81, v76, v6
	v_dot2_f32_f16 v7, v51, v76, v7
	;; [unrolled: 1-line block ×8, first 2 shown]
	s_wait_loadcnt 0x1
	v_dot2_f32_f16 v5, v46, v78, v6
	v_dot2_f32_f16 v6, v89, v78, v7
	;; [unrolled: 1-line block ×8, first 2 shown]
	s_wait_loadcnt 0x0
	v_dot2_f32_f16 v2, v95, v80, v5
	v_dot2_f32_f16 v5, v38, v80, v6
	;; [unrolled: 1-line block ×9, first 2 shown]
	scratch_store_b32 off, v0, off offset:108 ; 4-byte Folded Spill
	v_dot2_f32_f16 v0, v47, v211, v5
	scratch_store_b32 off, v0, off offset:104 ; 4-byte Folded Spill
	v_dot2_f32_f16 v0, v41, v211, v6
	;; [unrolled: 2-line block ×7, first 2 shown]
	scratch_store_b32 off, v0, off offset:80 ; 4-byte Folded Spill
	scratch_load_b32 v0, off, off offset:112 th:TH_LOAD_LU ; 4-byte Folded Reload
	s_wait_loadcnt 0x0
	ds_load_b128 v[29:32], v0 offset:512
	ds_load_b128 v[25:28], v0 offset:1552
	;; [unrolled: 1-line block ×8, first 2 shown]
	s_clause 0x1
	scratch_load_b64 v[48:49], off, off offset:284 th:TH_LOAD_LU
	scratch_load_b64 v[45:46], off, off offset:24
	v_mov_b32_e32 v166, v238
	v_mov_b32_e32 v164, v240
	;; [unrolled: 1-line block ×9, first 2 shown]
	s_wait_dscnt 0x7
	v_dual_mov_b32 v102, v215 :: v_dual_mov_b32 v61, v32
	s_wait_dscnt 0x5
	v_dual_mov_b32 v44, v29 :: v_dual_mov_b32 v247, v22
	v_dual_mov_b32 v34, v29 :: v_dual_mov_b32 v249, v22
	;; [unrolled: 1-line block ×3, first 2 shown]
	v_mov_b32_e32 v251, v22
	v_dual_mov_b32 v3, v29 :: v_dual_mov_b32 v0, v29
	v_dual_mov_b32 v2, v29 :: v_dual_mov_b32 v167, v239
	v_mov_b32_e32 v165, v241
	v_mov_b32_dpp v29, v29 dpp8:[7,7,7,7,7,7,7,7]
	v_dual_mov_b32 v121, v30 :: v_dual_mov_b32 v120, v30
	v_dual_mov_b32 v119, v30 :: v_dual_mov_b32 v118, v30
	v_mov_b32_e32 v117, v30
	v_mov_b32_e32 v113, v30
	;; [unrolled: 1-line block ×7, first 2 shown]
	v_mov_b32_dpp v44, v44 dpp8:[0,0,0,0,0,0,0,0]
	v_mov_b32_dpp v34, v34 dpp8:[1,1,1,1,1,1,1,1]
	;; [unrolled: 1-line block ×13, first 2 shown]
	v_mov_b32_e32 v243, v23
	v_mov_b32_dpp v120, v120 dpp8:[1,1,1,1,1,1,1,1]
	v_mov_b32_e32 v229, v24
	v_mov_b32_dpp v118, v118 dpp8:[3,3,3,3,3,3,3,3]
	v_dual_mov_b32 v116, v31 :: v_dual_mov_b32 v111, v31
	v_mov_b32_e32 v104, v31
	v_dual_mov_b32 v50, v31 :: v_dual_mov_b32 v63, v31
	v_mov_b32_e32 v96, v31
	;; [unrolled: 2-line block ×3, first 2 shown]
	v_mov_b32_e32 v173, v233
	v_mov_b32_e32 v171, v235
	;; [unrolled: 1-line block ×3, first 2 shown]
	v_mov_b32_dpp v111, v111 dpp8:[1,1,1,1,1,1,1,1]
	v_mov_b32_dpp v63, v63 dpp8:[4,4,4,4,4,4,4,4]
	;; [unrolled: 1-line block ×3, first 2 shown]
	v_mov_b32_e32 v231, v24
	v_mov_b32_dpp v116, v116 dpp8:[0,0,0,0,0,0,0,0]
	v_mov_b32_e32 v233, v24
	v_mov_b32_dpp v104, v104 dpp8:[2,2,2,2,2,2,2,2]
	;; [unrolled: 2-line block ×4, first 2 shown]
	s_wait_dscnt 0x4
	v_mov_b32_e32 v225, v17
	v_mov_b32_dpp v94, v94 dpp8:[6,6,6,6,6,6,6,6]
	v_dual_mov_b32 v106, v32 :: v_dual_mov_b32 v105, v32
	v_dual_mov_b32 v103, v32 :: v_dual_mov_b32 v70, v32
	v_mov_b32_e32 v92, v32
	v_dual_mov_b32 v98, v220 :: v_dual_mov_b32 v115, v25
	v_dual_mov_b32 v218, v222 :: v_dual_mov_b32 v109, v25
	;; [unrolled: 1-line block ×3, first 2 shown]
	v_mov_b32_e32 v99, v221
	v_mov_b32_e32 v219, v223
	;; [unrolled: 1-line block ×3, first 2 shown]
	v_mov_b32_dpp v105, v105 dpp8:[1,1,1,1,1,1,1,1]
	v_mov_b32_dpp v103, v103 dpp8:[2,2,2,2,2,2,2,2]
	v_mov_b32_dpp v61, v61 dpp8:[5,5,5,5,5,5,5,5]
	v_mov_b32_e32 v114, v25
	v_dual_mov_b32 v112, v25 :: v_dual_mov_b32 v135, v19
	v_dual_mov_b32 v110, v25 :: v_dual_mov_b32 v201, v20
	;; [unrolled: 1-line block ×4, first 2 shown]
	v_mov_b32_e32 v227, v17
	v_mov_b32_dpp v106, v106 dpp8:[0,0,0,0,0,0,0,0]
	v_mov_b32_e32 v221, v18
	v_mov_b32_dpp v70, v70 dpp8:[4,4,4,4,4,4,4,4]
	;; [unrolled: 2-line block ×3, first 2 shown]
	v_dual_mov_b32 v146, v210 :: v_dual_mov_b32 v245, v22
	v_mov_b32_e32 v147, v211
	v_mov_b32_dpp v115, v115 dpp8:[0,0,0,0,0,0,0,0]
	v_mov_b32_dpp v112, v112 dpp8:[2,2,2,2,2,2,2,2]
	;; [unrolled: 1-line block ×7, first 2 shown]
	v_mov_b32_e32 v211, v19
	v_mov_b32_dpp v114, v114 dpp8:[1,1,1,1,1,1,1,1]
	v_mov_b32_e32 v127, v26
	v_dual_mov_b32 v133, v27 :: v_dual_mov_b32 v126, v26
	v_mov_b32_e32 v207, v20
	v_mov_b32_e32 v81, v28
	s_delay_alu instid0(VALU_DEP_4) | instskip(NEXT) | instid1(VALU_DEP_4)
	v_mov_b32_dpp v127, v127 dpp8:[0,0,0,0,0,0,0,0]
	v_mov_b32_dpp v133, v133 dpp8:[0,0,0,0,0,0,0,0]
	;; [unrolled: 1-line block ×3, first 2 shown]
	v_dual_mov_b32 v124, v26 :: v_dual_mov_b32 v209, v20
	v_dual_mov_b32 v123, v26 :: v_dual_mov_b32 v122, v26
	s_wait_dscnt 0x3
	v_dual_mov_b32 v197, v13 :: v_dual_mov_b32 v88, v26
	v_dual_mov_b32 v199, v13 :: v_dual_mov_b32 v132, v27
	v_mov_b32_e32 v187, v14
	v_mov_b32_dpp v81, v81 dpp8:[0,0,0,0,0,0,0,0]
	v_dual_mov_b32 v252, v21 :: v_dual_mov_b32 v179, v16
	v_mov_b32_dpp v125, v125 dpp8:[2,2,2,2,2,2,2,2]
	v_mov_b32_dpp v124, v124 dpp8:[3,3,3,3,3,3,3,3]
	;; [unrolled: 1-line block ×7, first 2 shown]
	v_dual_mov_b32 v131, v27 :: v_dual_mov_b32 v130, v27
	v_mov_b32_e32 v189, v14
	v_dual_mov_b32 v129, v27 :: v_dual_mov_b32 v128, v27
	v_dual_mov_b32 v191, v14 :: v_dual_mov_b32 v86, v27
	v_dual_mov_b32 v193, v14 :: v_dual_mov_b32 v100, v28
	v_mov_b32_e32 v195, v14
	v_mov_b32_dpp v252, v252 dpp8:[0,0,0,0,0,0,0,0]
	v_mov_b32_dpp v131, v131 dpp8:[2,2,2,2,2,2,2,2]
	;; [unrolled: 1-line block ×8, first 2 shown]
	v_dual_mov_b32 v136, v28 :: v_dual_mov_b32 v183, v15
	v_dual_mov_b32 v68, v28 :: v_dual_mov_b32 v185, v15
	;; [unrolled: 1-line block ×3, first 2 shown]
	v_mov_b32_e32 v253, v21
	v_mov_b32_dpp v245, v245 dpp8:[0,0,0,0,0,0,0,0]
	s_wait_dscnt 0x2
	v_dual_mov_b32 v238, v23 :: v_dual_mov_b32 v55, v10
	v_mov_b32_dpp v136, v136 dpp8:[3,3,3,3,3,3,3,3]
	v_mov_b32_dpp v68, v68 dpp8:[4,4,4,4,4,4,4,4]
	;; [unrolled: 1-line block ×4, first 2 shown]
	v_dual_mov_b32 v254, v21 :: v_dual_mov_b32 v181, v16
	v_mov_b32_e32 v255, v21
	v_dual_mov_b32 v145, v21 :: v_dual_mov_b32 v82, v21
	v_dual_mov_b32 v53, v9 :: v_dual_mov_b32 v246, v22
	v_mov_b32_e32 v67, v10
	v_mov_b32_dpp v238, v238 dpp8:[0,0,0,0,0,0,0,0]
	v_mov_b32_dpp v254, v254 dpp8:[2,2,2,2,2,2,2,2]
	;; [unrolled: 1-line block ×7, first 2 shown]
	v_dual_mov_b32 v224, v17 :: v_dual_mov_b32 v89, v12
	v_dual_mov_b32 v248, v22 :: v_dual_mov_b32 v69, v10
	;; [unrolled: 1-line block ×3, first 2 shown]
	v_mov_b32_dpp v239, v239 dpp8:[1,1,1,1,1,1,1,1]
	s_delay_alu instid0(VALU_DEP_4)
	v_mov_b32_dpp v224, v224 dpp8:[0,0,0,0,0,0,0,0]
	v_mov_b32_dpp v247, v247 dpp8:[2,2,2,2,2,2,2,2]
	;; [unrolled: 1-line block ×7, first 2 shown]
	v_dual_mov_b32 v240, v23 :: v_dual_mov_b32 v95, v11
	v_dual_mov_b32 v242, v23 :: v_dual_mov_b32 v97, v11
	;; [unrolled: 1-line block ×3, first 2 shown]
	v_mov_b32_dpp v231, v231 dpp8:[1,1,1,1,1,1,1,1]
	v_mov_b32_e32 v210, v19
	v_mov_b32_dpp v240, v240 dpp8:[2,2,2,2,2,2,2,2]
	v_mov_b32_dpp v241, v241 dpp8:[3,3,3,3,3,3,3,3]
	;; [unrolled: 1-line block ×6, first 2 shown]
	v_dual_mov_b32 v234, v24 :: v_dual_mov_b32 v85, v12
	v_dual_mov_b32 v236, v24 :: v_dual_mov_b32 v87, v12
	v_mov_b32_dpp v225, v225 dpp8:[1,1,1,1,1,1,1,1]
	v_mov_b32_e32 v140, v18
	v_mov_b32_dpp v210, v210 dpp8:[0,0,0,0,0,0,0,0]
	v_mov_b32_dpp v233, v233 dpp8:[2,2,2,2,2,2,2,2]
	;; [unrolled: 1-line block ×7, first 2 shown]
	v_dual_mov_b32 v226, v17 :: v_dual_mov_b32 v91, v12
	v_dual_mov_b32 v228, v17 :: v_dual_mov_b32 v93, v12
	v_mov_b32_e32 v230, v17
	s_wait_dscnt 0x1
	v_dual_mov_b32 v232, v17 :: v_dual_mov_b32 v83, v5
	v_mov_b32_dpp v140, v140 dpp8:[1,1,1,1,1,1,1,1]
	v_mov_b32_dpp v201, v201 dpp8:[0,0,0,0,0,0,0,0]
	v_mov_b32_e32 v196, v13
	v_mov_b32_dpp v226, v226 dpp8:[2,2,2,2,2,2,2,2]
	v_mov_b32_dpp v227, v227 dpp8:[3,3,3,3,3,3,3,3]
	;; [unrolled: 1-line block ×6, first 2 shown]
	v_dual_mov_b32 v220, v18 :: v_dual_mov_b32 v137, v6
	v_mov_b32_e32 v222, v18
	v_mov_b32_dpp v211, v211 dpp8:[1,1,1,1,1,1,1,1]
	v_mov_b32_dpp v196, v196 dpp8:[0,0,0,0,0,0,0,0]
	s_delay_alu instid0(VALU_DEP_4)
	v_mov_b32_dpp v220, v220 dpp8:[3,3,3,3,3,3,3,3]
	v_mov_b32_dpp v221, v221 dpp8:[4,4,4,4,4,4,4,4]
	;; [unrolled: 1-line block ×4, first 2 shown]
	v_mov_b32_e32 v138, v19
	v_mov_b32_dpp v203, v203 dpp8:[1,1,1,1,1,1,1,1]
	v_mov_b32_dpp v187, v187 dpp8:[0,0,0,0,0,0,0,0]
	v_mov_b32_e32 v182, v15
	v_mov_b32_dpp v135, v135 dpp8:[4,4,4,4,4,4,4,4]
	v_mov_b32_dpp v138, v138 dpp8:[6,6,6,6,6,6,6,6]
	;; [unrolled: 1-line block ×3, first 2 shown]
	v_mov_b32_e32 v52, v16
	v_mov_b32_dpp v182, v182 dpp8:[0,0,0,0,0,0,0,0]
	v_mov_b32_dpp v189, v189 dpp8:[1,1,1,1,1,1,1,1]
	v_mov_b32_e32 v206, v20
	v_mov_b32_e32 v208, v20
	v_mov_b32_dpp v52, v52 dpp8:[0,0,0,0,0,0,0,0]
	v_mov_b32_dpp v183, v183 dpp8:[1,1,1,1,1,1,1,1]
	;; [unrolled: 1-line block ×8, first 2 shown]
	v_mov_b32_e32 v198, v13
	v_mov_b32_e32 v200, v13
	;; [unrolled: 1-line block ×5, first 2 shown]
	v_mov_b32_dpp v67, v67 dpp8:[0,0,0,0,0,0,0,0]
	v_mov_b32_dpp v198, v198 dpp8:[2,2,2,2,2,2,2,2]
	;; [unrolled: 1-line block ×7, first 2 shown]
	v_mov_b32_e32 v192, v14
	v_mov_b32_e32 v194, v14
	v_mov_b32_dpp v54, v54 dpp8:[1,1,1,1,1,1,1,1]
	v_mov_b32_dpp v95, v95 dpp8:[0,0,0,0,0,0,0,0]
	;; [unrolled: 1-line block ×8, first 2 shown]
	v_mov_b32_e32 v184, v15
	v_mov_b32_e32 v186, v15
	;; [unrolled: 1-line block ×4, first 2 shown]
	v_mov_b32_dpp v69, v69 dpp8:[1,1,1,1,1,1,1,1]
	v_mov_b32_dpp v59, v59 dpp8:[0,0,0,0,0,0,0,0]
	v_mov_b32_e32 v134, v5
	v_mov_b32_dpp v184, v184 dpp8:[2,2,2,2,2,2,2,2]
	v_mov_b32_dpp v185, v185 dpp8:[3,3,3,3,3,3,3,3]
	;; [unrolled: 1-line block ×6, first 2 shown]
	v_mov_b32_e32 v178, v16
	v_mov_b32_e32 v180, v16
	v_mov_b32_dpp v97, v97 dpp8:[1,1,1,1,1,1,1,1]
	v_mov_b32_e32 v58, v12
	v_mov_b32_dpp v134, v134 dpp8:[0,0,0,0,0,0,0,0]
	v_mov_b32_dpp v177, v177 dpp8:[2,2,2,2,2,2,2,2]
	;; [unrolled: 1-line block ×6, first 2 shown]
	v_mov_b32_e32 v176, v9
	v_mov_b32_dpp v58, v58 dpp8:[1,1,1,1,1,1,1,1]
	v_mov_b32_dpp v53, v53 dpp8:[3,3,3,3,3,3,3,3]
	v_mov_b32_e32 v56, v10
	v_mov_b32_dpp v57, v57 dpp8:[2,2,2,2,2,2,2,2]
	v_mov_b32_dpp v176, v176 dpp8:[6,6,6,6,6,6,6,6]
	;; [unrolled: 1-line block ×5, first 2 shown]
	v_mov_b32_e32 v64, v5
	v_mov_b32_dpp v87, v87 dpp8:[3,3,3,3,3,3,3,3]
	s_wait_loadcnt 0x1
	v_dot2_f32_f16 v35, v44, v48, 0
	v_dot2_f32_f16 v36, v34, v48, 0
	;; [unrolled: 1-line block ×8, first 2 shown]
	s_wait_loadcnt 0x0
	v_dot2_f32_f16 v35, v121, v45, v35
	v_dot2_f32_f16 v36, v120, v45, v36
	;; [unrolled: 1-line block ×8, first 2 shown]
	scratch_load_b64 v[45:46], off, off offset:16 ; 8-byte Folded Reload
	s_wait_loadcnt 0x0
	scratch_load_b64 v[46:47], off, off offset:8 ; 8-byte Folded Reload
	v_mov_b32_e32 v48, v19
	v_mov_b32_dpp v64, v64 dpp8:[2,2,2,2,2,2,2,2]
	v_mov_b32_dpp v89, v89 dpp8:[4,4,4,4,4,4,4,4]
	;; [unrolled: 1-line block ×6, first 2 shown]
	v_mov_b32_e32 v62, v5
	v_mov_b32_e32 v60, v5
	v_mov_b32_dpp v83, v83 dpp8:[6,6,6,6,6,6,6,6]
	v_mov_b32_dpp v137, v137 dpp8:[6,6,6,6,6,6,6,6]
	v_mov_b32_e32 v51, v16
	v_mov_b32_dpp v16, v16 dpp8:[7,7,7,7,7,7,7,7]
	v_mov_b32_dpp v62, v62 dpp8:[3,3,3,3,3,3,3,3]
	;; [unrolled: 1-line block ×3, first 2 shown]
	v_mov_b32_e32 v139, v6
	v_mov_b32_dpp v51, v51 dpp8:[1,1,1,1,1,1,1,1]
	v_mov_b32_e32 v1, v6
	s_delay_alu instid0(VALU_DEP_3) | instskip(NEXT) | instid1(VALU_DEP_2)
	v_mov_b32_dpp v139, v139 dpp8:[5,5,5,5,5,5,5,5]
	v_mov_b32_dpp v1, v1 dpp8:[0,0,0,0,0,0,0,0]
	scratch_store_b32 off, v1, off offset:276 ; 4-byte Folded Spill
	v_dot2_f32_f16 v35, v116, v45, v35
	v_dot2_f32_f16 v36, v111, v45, v36
	;; [unrolled: 1-line block ×8, first 2 shown]
	v_mov_b32_e32 v45, v32
	v_mov_b32_dpp v32, v32 dpp8:[7,7,7,7,7,7,7,7]
	v_dot2_f32_f16 v35, v106, v101, v35
	v_dot2_f32_f16 v36, v105, v101, v36
	;; [unrolled: 1-line block ×3, first 2 shown]
	v_mov_b32_dpp v45, v45 dpp8:[3,3,3,3,3,3,3,3]
	v_dot2_f32_f16 v39, v70, v101, v39
	v_dot2_f32_f16 v40, v61, v101, v40
	;; [unrolled: 1-line block ×5, first 2 shown]
	s_wait_loadcnt 0x0
	v_dot2_f32_f16 v35, v115, v46, v35
	v_dot2_f32_f16 v36, v114, v46, v36
	;; [unrolled: 1-line block ×8, first 2 shown]
	scratch_load_b64 v[46:47], off, off     ; 8-byte Folded Reload
	v_mov_b32_e32 v101, v28
	s_wait_loadcnt 0x0
	v_mov_b32_e32 v47, v21
	v_mov_b32_dpp v21, v21 dpp8:[7,7,7,7,7,7,7,7]
	s_delay_alu instid0(VALU_DEP_3) | instskip(NEXT) | instid1(VALU_DEP_3)
	v_mov_b32_dpp v101, v101 dpp8:[2,2,2,2,2,2,2,2]
	v_mov_b32_dpp v47, v47 dpp8:[5,5,5,5,5,5,5,5]
	v_dot2_f32_f16 v35, v127, v46, v35
	v_dot2_f32_f16 v36, v126, v46, v36
	;; [unrolled: 1-line block ×11, first 2 shown]
	v_mov_b32_e32 v46, v28
	v_dot2_f32_f16 v37, v131, v98, v37
	v_dot2_f32_f16 v38, v130, v98, v38
	;; [unrolled: 1-line block ×8, first 2 shown]
	v_mov_b32_dpp v46, v46 dpp8:[5,5,5,5,5,5,5,5]
	v_mov_b32_dpp v28, v28 dpp8:[7,7,7,7,7,7,7,7]
	v_dot2_f32_f16 v35, v245, v214, v35
	v_dot2_f32_f16 v37, v101, v218, v37
	;; [unrolled: 1-line block ×17, first 2 shown]
	v_mov_b32_e32 v216, v18
	v_dot2_f32_f16 v37, v247, v214, v37
	v_dot2_f32_f16 v38, v248, v214, v38
	;; [unrolled: 1-line block ×4, first 2 shown]
	v_mov_b32_dpp v216, v216 dpp8:[0,0,0,0,0,0,0,0]
	v_dot2_f32_f16 v39, v249, v214, v39
	v_dot2_f32_f16 v40, v250, v214, v40
	v_dot2_f32_f16 v41, v251, v214, v41
	v_dot2_f32_f16 v42, v22, v214, v42
	v_dot2_f32_f16 v36, v231, v174, v36
	v_dot2_f32_f16 v35, v216, v170, v35
	v_dot2_f32_f16 v37, v240, v212, v37
	v_dot2_f32_f16 v38, v241, v212, v38
	v_dot2_f32_f16 v39, v242, v212, v39
	v_dot2_f32_f16 v40, v243, v212, v40
	v_dot2_f32_f16 v41, v244, v212, v41
	v_dot2_f32_f16 v42, v23, v212, v42
	v_dot2_f32_f16 v36, v225, v172, v36
	v_dot2_f32_f16 v35, v210, v168, v35
	v_dot2_f32_f16 v37, v233, v174, v37
	v_dot2_f32_f16 v38, v234, v174, v38
	v_dot2_f32_f16 v39, v235, v174, v39
	v_dot2_f32_f16 v40, v236, v174, v40
	v_dot2_f32_f16 v41, v237, v174, v41
	v_dot2_f32_f16 v42, v24, v174, v42
	v_dot2_f32_f16 v36, v140, v170, v36
	v_mov_b32_e32 v218, v18
	v_dot2_f32_f16 v35, v201, v166, v35
	v_dot2_f32_f16 v37, v226, v172, v37
	;; [unrolled: 1-line block ×7, first 2 shown]
	v_mov_b32_dpp v218, v218 dpp8:[2,2,2,2,2,2,2,2]
	v_mov_b32_dpp v18, v18 dpp8:[7,7,7,7,7,7,7,7]
	v_dot2_f32_f16 v36, v211, v168, v36
	v_mov_b32_e32 v212, v19
	v_mov_b32_e32 v214, v19
	v_dot2_f32_f16 v35, v196, v164, v35
	v_dot2_f32_f16 v37, v218, v170, v37
	;; [unrolled: 1-line block ×7, first 2 shown]
	v_mov_b32_dpp v212, v212 dpp8:[2,2,2,2,2,2,2,2]
	v_mov_b32_dpp v214, v214 dpp8:[5,5,5,5,5,5,5,5]
	;; [unrolled: 1-line block ×3, first 2 shown]
	v_dot2_f32_f16 v36, v203, v166, v36
	v_dot2_f32_f16 v35, v187, v162, v35
	;; [unrolled: 1-line block ×10, first 2 shown]
	v_mov_b32_e32 v168, v9
	v_dot2_f32_f16 v37, v205, v166, v37
	v_dot2_f32_f16 v38, v206, v166, v38
	;; [unrolled: 1-line block ×4, first 2 shown]
	v_mov_b32_dpp v168, v168 dpp8:[0,0,0,0,0,0,0,0]
	v_dot2_f32_f16 v39, v207, v166, v39
	v_dot2_f32_f16 v40, v208, v166, v40
	;; [unrolled: 1-line block ×30, first 2 shown]
	v_mov_b32_e32 v170, v9
	v_mov_b32_e32 v172, v9
	;; [unrolled: 1-line block ×3, first 2 shown]
	v_dot2_f32_f16 v36, v97, v152, v36
	v_dot2_f32_f16 v43, v134, v148, v35
	v_mov_b32_e32 v98, v5
	v_dot2_f32_f16 v37, v177, v158, v37
	v_dot2_f32_f16 v38, v178, v158, v38
	;; [unrolled: 1-line block ×6, first 2 shown]
	v_mov_b32_dpp v170, v170 dpp8:[2,2,2,2,2,2,2,2]
	v_mov_b32_dpp v172, v172 dpp8:[4,4,4,4,4,4,4,4]
	;; [unrolled: 1-line block ×4, first 2 shown]
	v_mov_b32_e32 v164, v10
	v_mov_b32_e32 v166, v10
	v_dot2_f32_f16 v36, v58, v150, v36
	v_mov_b32_dpp v98, v98 dpp8:[1,1,1,1,1,1,1,1]
	v_dot2_f32_f16 v43, v1, v65, v43
	v_mov_b32_e32 v1, v6
	v_dot2_f32_f16 v37, v170, v156, v37
	v_dot2_f32_f16 v38, v53, v156, v38
	;; [unrolled: 1-line block ×6, first 2 shown]
	v_mov_b32_dpp v164, v164 dpp8:[3,3,3,3,3,3,3,3]
	v_mov_b32_dpp v166, v166 dpp8:[5,5,5,5,5,5,5,5]
	;; [unrolled: 1-line block ×3, first 2 shown]
	v_dot2_f32_f16 v36, v98, v148, v36
	v_mov_b32_dpp v1, v1 dpp8:[1,1,1,1,1,1,1,1]
	v_dot2_f32_f16 v37, v57, v154, v37
	v_dot2_f32_f16 v38, v164, v154, v38
	v_dot2_f32_f16 v39, v56, v154, v39
	v_dot2_f32_f16 v40, v166, v154, v40
	v_dot2_f32_f16 v41, v55, v154, v41
	v_dot2_f32_f16 v42, v10, v154, v42
	v_mov_b32_e32 v154, v11
	scratch_store_b32 off, v1, off offset:280 ; 4-byte Folded Spill
	v_dot2_f32_f16 v36, v1, v65, v36
	v_dual_mov_b32 v1, v7 :: v_dual_mov_b32 v156, v11
	v_mov_b32_dpp v154, v154 dpp8:[2,2,2,2,2,2,2,2]
	v_mov_b32_e32 v158, v11
	v_mov_b32_e32 v160, v11
	;; [unrolled: 1-line block ×3, first 2 shown]
	v_mov_b32_dpp v1, v1 dpp8:[0,0,0,0,0,0,0,0]
	v_dot2_f32_f16 v37, v154, v152, v37
	v_mov_b32_dpp v156, v156 dpp8:[3,3,3,3,3,3,3,3]
	v_mov_b32_dpp v158, v158 dpp8:[4,4,4,4,4,4,4,4]
	;; [unrolled: 1-line block ×5, first 2 shown]
	scratch_store_b32 off, v1, off offset:252 ; 4-byte Folded Spill
	v_dot2_f32_f16 v43, v1, v71, v43
	v_mov_b32_e32 v1, v7
	v_dot2_f32_f16 v38, v156, v152, v38
	v_dot2_f32_f16 v39, v158, v152, v39
	;; [unrolled: 1-line block ×6, first 2 shown]
	v_mov_b32_e32 v152, v6
	v_mov_b32_dpp v1, v1 dpp8:[1,1,1,1,1,1,1,1]
	v_dot2_f32_f16 v38, v87, v150, v38
	v_dot2_f32_f16 v39, v89, v150, v39
	;; [unrolled: 1-line block ×3, first 2 shown]
	v_mov_b32_dpp v152, v152 dpp8:[2,2,2,2,2,2,2,2]
	scratch_store_b32 off, v1, off offset:256 ; 4-byte Folded Spill
	v_dot2_f32_f16 v36, v1, v71, v36
	v_mov_b32_e32 v1, v7
	v_dot2_f32_f16 v40, v91, v150, v40
	v_dot2_f32_f16 v41, v93, v150, v41
	;; [unrolled: 1-line block ×3, first 2 shown]
	v_mov_b32_e32 v35, v5
	v_dot2_f32_f16 v37, v152, v65, v37
	v_mov_b32_e32 v150, v6
	v_mov_b32_dpp v1, v1 dpp8:[2,2,2,2,2,2,2,2]
	v_dot2_f32_f16 v38, v62, v148, v38
	v_mov_b32_dpp v35, v35 dpp8:[5,5,5,5,5,5,5,5]
	v_mov_b32_dpp v5, v5 dpp8:[7,7,7,7,7,7,7,7]
	;; [unrolled: 1-line block ×3, first 2 shown]
	scratch_store_b32 off, v1, off offset:260 ; 4-byte Folded Spill
	v_dot2_f32_f16 v37, v1, v71, v37
	v_mov_b32_e32 v1, v7
	v_dot2_f32_f16 v39, v60, v148, v39
	v_dot2_f32_f16 v40, v35, v148, v40
	;; [unrolled: 1-line block ×5, first 2 shown]
	v_mov_b32_e32 v148, v6
	v_mov_b32_dpp v1, v1 dpp8:[3,3,3,3,3,3,3,3]
	v_mov_b32_dpp v6, v6 dpp8:[7,7,7,7,7,7,7,7]
	v_dot2_f32_f16 v40, v139, v65, v40
	v_dot2_f32_f16 v41, v137, v65, v41
	v_mov_b32_dpp v148, v148 dpp8:[4,4,4,4,4,4,4,4]
	scratch_store_b32 off, v1, off offset:264 ; 4-byte Folded Spill
	v_dot2_f32_f16 v38, v1, v71, v38
	v_mov_b32_e32 v1, v7
	v_dot2_f32_f16 v42, v6, v65, v42
	v_dot2_f32_f16 v39, v148, v65, v39
	v_mov_b32_e32 v65, v7
	s_delay_alu instid0(VALU_DEP_4) | instskip(NEXT) | instid1(VALU_DEP_2)
	v_mov_b32_dpp v1, v1 dpp8:[4,4,4,4,4,4,4,4]
	v_mov_b32_dpp v65, v65 dpp8:[6,6,6,6,6,6,6,6]
	scratch_store_b32 off, v1, off offset:268 ; 4-byte Folded Spill
	v_dot2_f32_f16 v39, v1, v71, v39
	v_mov_b32_e32 v1, v7
	v_mov_b32_dpp v7, v7 dpp8:[7,7,7,7,7,7,7,7]
	v_dot2_f32_f16 v41, v65, v71, v41
	s_delay_alu instid0(VALU_DEP_3) | instskip(NEXT) | instid1(VALU_DEP_3)
	v_mov_b32_dpp v1, v1 dpp8:[5,5,5,5,5,5,5,5]
	v_dot2_f32_f16 v42, v7, v71, v42
	s_delay_alu instid0(VALU_DEP_2) | instskip(SKIP_2) | instid1(VALU_DEP_1)
	v_dot2_f32_f16 v40, v1, v71, v40
	s_wait_dscnt 0x0
	v_mov_b32_e32 v71, v141
	v_mov_b32_dpp v71, v71 dpp8:[0,0,0,0,0,0,0,0]
	scratch_store_b32 off, v1, off offset:272 ; 4-byte Folded Spill
	v_mov_b32_e32 v1, v8
	scratch_store_b32 off, v71, off offset:216 ; 4-byte Folded Spill
	v_mov_b32_dpp v1, v1 dpp8:[0,0,0,0,0,0,0,0]
	s_delay_alu instid0(VALU_DEP_1) | instskip(NEXT) | instid1(VALU_DEP_1)
	v_dot2_f32_f16 v43, v1, v73, v43
	v_dot2_f32_f16 v43, v71, v75, v43
	v_mov_b32_e32 v71, v141
	s_delay_alu instid0(VALU_DEP_1) | instskip(SKIP_4) | instid1(VALU_DEP_1)
	v_mov_b32_dpp v71, v71 dpp8:[1,1,1,1,1,1,1,1]
	scratch_store_b32 off, v1, off offset:224 ; 4-byte Folded Spill
	v_mov_b32_e32 v1, v8
	scratch_store_b32 off, v71, off offset:212 ; 4-byte Folded Spill
	v_mov_b32_dpp v1, v1 dpp8:[1,1,1,1,1,1,1,1]
	v_dot2_f32_f16 v36, v1, v73, v36
	s_delay_alu instid0(VALU_DEP_1) | instskip(SKIP_1) | instid1(VALU_DEP_1)
	v_dot2_f32_f16 v36, v71, v75, v36
	v_mov_b32_e32 v71, v141
	v_mov_b32_dpp v71, v71 dpp8:[2,2,2,2,2,2,2,2]
	scratch_store_b32 off, v1, off offset:228 ; 4-byte Folded Spill
	v_mov_b32_e32 v1, v8
	scratch_store_b32 off, v71, off offset:208 ; 4-byte Folded Spill
	v_mov_b32_dpp v1, v1 dpp8:[2,2,2,2,2,2,2,2]
	s_delay_alu instid0(VALU_DEP_1) | instskip(NEXT) | instid1(VALU_DEP_1)
	v_dot2_f32_f16 v37, v1, v73, v37
	v_dot2_f32_f16 v37, v71, v75, v37
	v_mov_b32_e32 v71, v141
	s_delay_alu instid0(VALU_DEP_1) | instskip(SKIP_4) | instid1(VALU_DEP_1)
	v_mov_b32_dpp v71, v71 dpp8:[3,3,3,3,3,3,3,3]
	scratch_store_b32 off, v1, off offset:232 ; 4-byte Folded Spill
	v_mov_b32_e32 v1, v8
	scratch_store_b32 off, v71, off offset:204 ; 4-byte Folded Spill
	v_mov_b32_dpp v1, v1 dpp8:[3,3,3,3,3,3,3,3]
	v_dot2_f32_f16 v38, v1, v73, v38
	s_delay_alu instid0(VALU_DEP_1) | instskip(SKIP_1) | instid1(VALU_DEP_1)
	v_dot2_f32_f16 v38, v71, v75, v38
	v_mov_b32_e32 v71, v141
	v_mov_b32_dpp v71, v71 dpp8:[4,4,4,4,4,4,4,4]
	scratch_store_b32 off, v1, off offset:236 ; 4-byte Folded Spill
	v_mov_b32_e32 v1, v8
	scratch_store_b32 off, v71, off offset:200 ; 4-byte Folded Spill
	v_mov_b32_dpp v1, v1 dpp8:[4,4,4,4,4,4,4,4]
	s_delay_alu instid0(VALU_DEP_1) | instskip(NEXT) | instid1(VALU_DEP_1)
	v_dot2_f32_f16 v39, v1, v73, v39
	v_dot2_f32_f16 v39, v71, v75, v39
	v_mov_b32_e32 v71, v141
	s_delay_alu instid0(VALU_DEP_1) | instskip(SKIP_4) | instid1(VALU_DEP_1)
	v_mov_b32_dpp v71, v71 dpp8:[5,5,5,5,5,5,5,5]
	scratch_store_b32 off, v1, off offset:240 ; 4-byte Folded Spill
	v_mov_b32_e32 v1, v8
	scratch_store_b32 off, v71, off offset:196 ; 4-byte Folded Spill
	v_mov_b32_dpp v1, v1 dpp8:[5,5,5,5,5,5,5,5]
	v_dot2_f32_f16 v40, v1, v73, v40
	s_delay_alu instid0(VALU_DEP_1) | instskip(SKIP_2) | instid1(VALU_DEP_2)
	v_dot2_f32_f16 v40, v71, v75, v40
	v_mov_b32_e32 v71, v141
	v_mov_b32_dpp v141, v141 dpp8:[7,7,7,7,7,7,7,7]
	v_mov_b32_dpp v71, v71 dpp8:[6,6,6,6,6,6,6,6]
	scratch_store_b32 off, v1, off offset:244 ; 4-byte Folded Spill
	v_mov_b32_e32 v1, v8
	v_mov_b32_dpp v8, v8 dpp8:[7,7,7,7,7,7,7,7]
	scratch_store_b32 off, v71, off offset:192 ; 4-byte Folded Spill
	v_mov_b32_dpp v1, v1 dpp8:[6,6,6,6,6,6,6,6]
	v_dot2_f32_f16 v42, v8, v73, v42
	s_delay_alu instid0(VALU_DEP_2) | instskip(SKIP_1) | instid1(VALU_DEP_3)
	v_dot2_f32_f16 v41, v1, v73, v41
	v_mov_b32_e32 v73, v144
	v_dot2_f32_f16 v42, v141, v75, v42
	s_delay_alu instid0(VALU_DEP_3) | instskip(SKIP_3) | instid1(VALU_DEP_3)
	v_dot2_f32_f16 v41, v71, v75, v41
	v_mov_b32_e32 v71, v142
	v_mov_b32_e32 v75, v143
	v_mov_b32_dpp v73, v73 dpp8:[0,0,0,0,0,0,0,0]
	v_mov_b32_dpp v71, v71 dpp8:[0,0,0,0,0,0,0,0]
	s_delay_alu instid0(VALU_DEP_3) | instskip(SKIP_3) | instid1(VALU_DEP_1)
	v_mov_b32_dpp v75, v75 dpp8:[6,6,6,6,6,6,6,6]
	scratch_store_b32 off, v71, off offset:188 ; 4-byte Folded Spill
	v_dot2_f32_f16 v43, v71, v77, v43
	v_mov_b32_e32 v71, v142
	v_mov_b32_dpp v71, v71 dpp8:[1,1,1,1,1,1,1,1]
	scratch_store_b32 off, v71, off offset:184 ; 4-byte Folded Spill
	v_dot2_f32_f16 v36, v71, v77, v36
	v_mov_b32_e32 v71, v142
	s_delay_alu instid0(VALU_DEP_1) | instskip(SKIP_3) | instid1(VALU_DEP_1)
	v_mov_b32_dpp v71, v71 dpp8:[2,2,2,2,2,2,2,2]
	scratch_store_b32 off, v71, off offset:180 ; 4-byte Folded Spill
	v_dot2_f32_f16 v37, v71, v77, v37
	v_mov_b32_e32 v71, v142
	v_mov_b32_dpp v71, v71 dpp8:[3,3,3,3,3,3,3,3]
	scratch_store_b32 off, v71, off offset:176 ; 4-byte Folded Spill
	v_dot2_f32_f16 v38, v71, v77, v38
	v_mov_b32_e32 v71, v142
	s_delay_alu instid0(VALU_DEP_1) | instskip(SKIP_3) | instid1(VALU_DEP_1)
	v_mov_b32_dpp v71, v71 dpp8:[4,4,4,4,4,4,4,4]
	scratch_store_b32 off, v71, off offset:172 ; 4-byte Folded Spill
	v_dot2_f32_f16 v39, v71, v77, v39
	v_mov_b32_e32 v71, v142
	v_mov_b32_dpp v71, v71 dpp8:[5,5,5,5,5,5,5,5]
	scratch_store_b32 off, v71, off offset:168 ; 4-byte Folded Spill
	v_dot2_f32_f16 v40, v71, v77, v40
	v_mov_b32_e32 v71, v142
	v_mov_b32_dpp v142, v142 dpp8:[7,7,7,7,7,7,7,7]
	s_delay_alu instid0(VALU_DEP_2) | instskip(NEXT) | instid1(VALU_DEP_2)
	v_mov_b32_dpp v71, v71 dpp8:[6,6,6,6,6,6,6,6]
	v_dot2_f32_f16 v42, v142, v77, v42
	scratch_store_b32 off, v71, off offset:164 ; 4-byte Folded Spill
	v_dot2_f32_f16 v41, v71, v77, v41
	v_mov_b32_e32 v71, v143
	v_mov_b32_e32 v77, v144
	s_delay_alu instid0(VALU_DEP_3) | instskip(NEXT) | instid1(VALU_DEP_3)
	v_dot2_f32_f16 v41, v75, v79, v41
	v_mov_b32_dpp v71, v71 dpp8:[0,0,0,0,0,0,0,0]
	s_delay_alu instid0(VALU_DEP_3) | instskip(SKIP_3) | instid1(VALU_DEP_2)
	v_mov_b32_dpp v77, v77 dpp8:[4,4,4,4,4,4,4,4]
	scratch_store_b32 off, v71, off offset:160 ; 4-byte Folded Spill
	v_dot2_f32_f16 v43, v71, v79, v43
	v_mov_b32_e32 v71, v143
	v_dot2_f32_f16 v43, v73, v146, v43
	s_delay_alu instid0(VALU_DEP_2) | instskip(SKIP_3) | instid1(VALU_DEP_1)
	v_mov_b32_dpp v71, v71 dpp8:[1,1,1,1,1,1,1,1]
	scratch_store_b32 off, v71, off offset:156 ; 4-byte Folded Spill
	v_dot2_f32_f16 v36, v71, v79, v36
	v_mov_b32_e32 v71, v143
	v_mov_b32_dpp v71, v71 dpp8:[2,2,2,2,2,2,2,2]
	scratch_store_b32 off, v71, off offset:152 ; 4-byte Folded Spill
	v_dot2_f32_f16 v37, v71, v79, v37
	v_mov_b32_e32 v71, v143
	s_delay_alu instid0(VALU_DEP_1) | instskip(SKIP_3) | instid1(VALU_DEP_1)
	v_mov_b32_dpp v71, v71 dpp8:[3,3,3,3,3,3,3,3]
	scratch_store_b32 off, v71, off offset:148 ; 4-byte Folded Spill
	v_dot2_f32_f16 v38, v71, v79, v38
	v_mov_b32_e32 v71, v143
	v_mov_b32_dpp v71, v71 dpp8:[4,4,4,4,4,4,4,4]
	scratch_store_b32 off, v71, off offset:144 ; 4-byte Folded Spill
	v_dot2_f32_f16 v39, v71, v79, v39
	v_mov_b32_e32 v71, v143
	v_mov_b32_dpp v143, v143 dpp8:[7,7,7,7,7,7,7,7]
	s_delay_alu instid0(VALU_DEP_2) | instskip(NEXT) | instid1(VALU_DEP_2)
	v_mov_b32_dpp v71, v71 dpp8:[5,5,5,5,5,5,5,5]
	v_dot2_f32_f16 v42, v143, v79, v42
	scratch_store_b32 off, v71, off offset:140 ; 4-byte Folded Spill
	v_dot2_f32_f16 v40, v71, v79, v40
	v_mov_b32_e32 v71, v144
	v_dot2_f32_f16 v79, v2, v49, 0
	s_delay_alu instid0(VALU_DEP_2) | instskip(NEXT) | instid1(VALU_DEP_1)
	v_mov_b32_dpp v71, v71 dpp8:[1,1,1,1,1,1,1,1]
	v_dot2_f32_f16 v36, v71, v146, v36
	scratch_store_b32 off, v1, off offset:248 ; 4-byte Folded Spill
	v_mov_b32_e32 v1, v144
	scratch_store_b32 off, v36, off offset:120 ; 4-byte Folded Spill
	v_mov_b32_dpp v1, v1 dpp8:[2,2,2,2,2,2,2,2]
	scratch_store_b32 off, v1, off offset:220 ; 4-byte Folded Spill
	v_dot2_f32_f16 v36, v1, v146, v37
	scratch_store_b32 off, v43, off offset:116 ; 4-byte Folded Spill
	scratch_load_b64 v[1:2], off, off offset:24 th:TH_LOAD_LU ; 8-byte Folded Reload
	v_mov_b32_e32 v43, v144
	v_dot2_f32_f16 v37, v44, v49, 0
	scratch_store_b32 off, v36, off offset:112 ; 4-byte Folded Spill
	v_mov_b32_e32 v36, v144
	v_mov_b32_dpp v43, v43 dpp8:[5,5,5,5,5,5,5,5]
	s_delay_alu instid0(VALU_DEP_2)
	v_mov_b32_dpp v36, v36 dpp8:[3,3,3,3,3,3,3,3]
	scratch_store_b32 off, v36, off offset:136 ; 4-byte Folded Spill
	v_dot2_f32_f16 v36, v36, v146, v38
	v_dot2_f32_f16 v38, v33, v49, 0
	;; [unrolled: 1-line block ×4, first 2 shown]
	scratch_store_b32 off, v36, off offset:124 ; 4-byte Folded Spill
	v_dot2_f32_f16 v36, v77, v146, v39
	v_mov_b32_e32 v39, v144
	v_mov_b32_dpp v144, v144 dpp8:[7,7,7,7,7,7,7,7]
	scratch_store_b32 off, v36, off offset:132 ; 4-byte Folded Spill
	v_dot2_f32_f16 v36, v43, v146, v40
	v_mov_b32_dpp v39, v39 dpp8:[6,6,6,6,6,6,6,6]
	v_dot2_f32_f16 v40, v4, v49, 0
	scratch_store_b32 off, v36, off offset:128 ; 4-byte Folded Spill
	v_dot2_f32_f16 v36, v34, v49, 0
	v_dot2_f32_f16 v41, v39, v146, v41
	;; [unrolled: 1-line block ×4, first 2 shown]
	s_wait_loadcnt 0x0
	v_mov_b32_e32 v1, v2
	s_delay_alu instid0(VALU_DEP_1)
	v_dot2_f32_f16 v121, v121, v1, v37
	v_dot2_f32_f16 v2, v120, v1, v36
	scratch_load_b64 v[36:37], off, off offset:16 th:TH_LOAD_LU ; 8-byte Folded Reload
	v_dot2_f32_f16 v33, v113, v1, v33
	v_dot2_f32_f16 v34, v107, v1, v79
	;; [unrolled: 1-line block ×6, first 2 shown]
	s_wait_loadcnt 0x0
	v_mov_b32_e32 v36, v37
	s_delay_alu instid0(VALU_DEP_1)
	v_dot2_f32_f16 v30, v96, v36, v33
	v_dot2_f32_f16 v33, v94, v36, v34
	;; [unrolled: 1-line block ×8, first 2 shown]
	scratch_load_b64 v[32:33], off, off offset:8 th:TH_LOAD_LU ; 8-byte Folded Reload
	v_dot2_f32_f16 v4, v50, v36, v4
	v_dot2_f32_f16 v29, v63, v36, v29
	;; [unrolled: 1-line block ×8, first 2 shown]
	s_wait_loadcnt 0x0
	v_mov_b32_e32 v32, v33
	s_delay_alu instid0(VALU_DEP_1)
	v_dot2_f32_f16 v1, v115, v32, v1
	v_dot2_f32_f16 v2, v114, v32, v2
	;; [unrolled: 1-line block ×8, first 2 shown]
	scratch_load_b64 v[32:33], off, off th:TH_LOAD_LU ; 8-byte Folded Reload
	s_wait_loadcnt 0x0
	v_mov_b32_e32 v32, v33
	s_delay_alu instid0(VALU_DEP_1)
	v_dot2_f32_f16 v1, v127, v32, v1
	v_dot2_f32_f16 v0, v26, v32, v0
	;; [unrolled: 1-line block ×97, first 2 shown]
	scratch_load_b32 v1, off, off offset:276 th:TH_LOAD_LU ; 4-byte Folded Reload
	v_dot2_f32_f16 v2, v132, v99, v2
	v_dot2_f32_f16 v4, v124, v32, v4
	v_dot2_f32_f16 v3, v125, v32, v3
	v_dot2_f32_f16 v0, v6, v66, v0
	scratch_load_b32 v6, off, off offset:252 th:TH_LOAD_LU ; 4-byte Folded Reload
	v_dot2_f32_f16 v2, v100, v219, v2
	v_dot2_f32_f16 v4, v130, v99, v4
	v_dot2_f32_f16 v3, v131, v99, v3
	v_dot2_f32_f16 v0, v7, v72, v0
	;; [unrolled: 5-line block ×4, first 2 shown]
	v_dot2_f32_f16 v13, v60, v149, v14
	v_dot2_f32_f16 v2, v239, v213, v2
	;; [unrolled: 1-line block ×14, first 2 shown]
	s_delay_alu instid0(VALU_DEP_4) | instskip(NEXT) | instid1(VALU_DEP_4)
	v_dot2_f32_f16 v0, v142, v78, v0
	v_dot2_f32_f16 v2, v140, v171, v2
	s_delay_alu instid0(VALU_DEP_4) | instskip(NEXT) | instid1(VALU_DEP_4)
	v_dot2_f32_f16 v4, v227, v173, v4
	v_dot2_f32_f16 v3, v226, v173, v3
	s_delay_alu instid0(VALU_DEP_3) | instskip(NEXT) | instid1(VALU_DEP_3)
	v_dot2_f32_f16 v2, v211, v169, v2
	v_dot2_f32_f16 v4, v220, v171, v4
	s_delay_alu instid0(VALU_DEP_3) | instskip(NEXT) | instid1(VALU_DEP_3)
	;; [unrolled: 3-line block ×15, first 2 shown]
	v_dot2_f32_f16 v4, v156, v153, v4
	v_dot2_f32_f16 v3, v154, v153, v3
	s_delay_alu instid0(VALU_DEP_3) | instskip(SKIP_3) | instid1(VALU_DEP_2)
	v_dot2_f32_f16 v10, v98, v149, v2
	scratch_load_b32 v2, off, off offset:280 th:TH_LOAD_LU ; 4-byte Folded Reload
	v_dot2_f32_f16 v4, v87, v151, v4
	v_dot2_f32_f16 v3, v85, v151, v3
	;; [unrolled: 1-line block ×3, first 2 shown]
	s_delay_alu instid0(VALU_DEP_2) | instskip(NEXT) | instid1(VALU_DEP_2)
	v_dot2_f32_f16 v11, v64, v149, v3
	v_dot2_f32_f16 v4, v150, v66, v12
	s_delay_alu instid0(VALU_DEP_2) | instskip(SKIP_4) | instid1(VALU_DEP_2)
	v_dot2_f32_f16 v3, v152, v66, v11
	s_wait_loadcnt 0x4
	v_dot2_f32_f16 v1, v1, v66, v9
	v_dot2_f32_f16 v9, v139, v66, v14
	s_wait_loadcnt 0x3
	v_dot2_f32_f16 v1, v6, v72, v1
	scratch_load_b32 v6, off, off offset:256 th:TH_LOAD_LU ; 4-byte Folded Reload
	s_wait_loadcnt 0x3
	v_dot2_f32_f16 v12, v7, v74, v1
	scratch_load_b32 v1, off, off offset:228 th:TH_LOAD_LU ; 4-byte Folded Reload
	s_wait_loadcnt 0x2
	v_dot2_f32_f16 v2, v2, v66, v10
	v_dot2_f32_f16 v10, v137, v66, v15
	s_delay_alu instid0(VALU_DEP_1) | instskip(SKIP_1) | instid1(VALU_DEP_3)
	v_dot2_f32_f16 v13, v65, v72, v10
	s_wait_loadcnt 0x1
	v_dot2_f32_f16 v2, v6, v72, v2
	scratch_load_b32 v6, off, off offset:260 th:TH_LOAD_LU ; 4-byte Folded Reload
	s_wait_loadcnt 0x1
	v_dot2_f32_f16 v11, v1, v74, v2
	s_clause 0x1
	scratch_load_b32 v1, off, off offset:232 th:TH_LOAD_LU
	scratch_load_b32 v2, off, off offset:212 th:TH_LOAD_LU
	s_wait_loadcnt 0x2
	v_dot2_f32_f16 v3, v6, v72, v3
	scratch_load_b32 v6, off, off offset:264 th:TH_LOAD_LU ; 4-byte Folded Reload
	s_wait_loadcnt 0x2
	v_dot2_f32_f16 v10, v1, v74, v3
	s_clause 0x1
	scratch_load_b32 v1, off, off offset:236 th:TH_LOAD_LU
	scratch_load_b32 v3, off, off offset:208 th:TH_LOAD_LU
	s_wait_loadcnt 0x2
	v_dot2_f32_f16 v4, v6, v72, v4
	scratch_load_b32 v6, off, off offset:268 th:TH_LOAD_LU ; 4-byte Folded Reload
	s_wait_loadcnt 0x0
	v_dot2_f32_f16 v5, v6, v72, v5
	scratch_load_b32 v6, off, off offset:272 th:TH_LOAD_LU ; 4-byte Folded Reload
	s_wait_loadcnt 0x0
	v_dot2_f32_f16 v6, v6, v72, v9
	v_dot2_f32_f16 v9, v1, v74, v4
	s_clause 0x1
	scratch_load_b32 v1, off, off offset:240 th:TH_LOAD_LU
	scratch_load_b32 v4, off, off offset:204 th:TH_LOAD_LU
	s_wait_loadcnt 0x1
	v_dot2_f32_f16 v7, v1, v74, v5
	scratch_load_b32 v1, off, off offset:244 th:TH_LOAD_LU ; 4-byte Folded Reload
	v_dot2_f32_f16 v7, v8, v76, v7
	scratch_load_b32 v8, off, off offset:196 th:TH_LOAD_LU ; 4-byte Folded Reload
	s_wait_loadcnt 0x1
	v_dot2_f32_f16 v6, v1, v74, v6
	scratch_load_b32 v1, off, off offset:248 th:TH_LOAD_LU ; 4-byte Folded Reload
	s_wait_loadcnt 0x1
	;; [unrolled: 3-line block ×5, first 2 shown]
	v_dot2_f32_f16 v1, v1, v76, v12
	s_wait_loadcnt 0x0
	s_delay_alu instid0(VALU_DEP_1) | instskip(SKIP_3) | instid1(VALU_DEP_1)
	v_dot2_f32_f16 v1, v8, v78, v1
	scratch_load_b32 v8, off, off offset:184 th:TH_LOAD_LU ; 4-byte Folded Reload
	v_dot2_f32_f16 v2, v2, v76, v11
	s_wait_loadcnt 0x0
	v_dot2_f32_f16 v2, v8, v78, v2
	scratch_load_b32 v8, off, off offset:180 th:TH_LOAD_LU ; 4-byte Folded Reload
	v_dot2_f32_f16 v3, v3, v76, v10
	s_wait_loadcnt 0x0
	s_delay_alu instid0(VALU_DEP_1) | instskip(SKIP_4) | instid1(VALU_DEP_2)
	v_dot2_f32_f16 v3, v8, v78, v3
	scratch_load_b32 v8, off, off offset:176 th:TH_LOAD_LU ; 4-byte Folded Reload
	v_dot2_f32_f16 v4, v4, v76, v9
	v_dot2_f32_f16 v9, v143, v80, v0
	s_wait_loadcnt 0x0
	v_dot2_f32_f16 v4, v8, v78, v4
	scratch_load_b32 v8, off, off offset:172 th:TH_LOAD_LU ; 4-byte Folded Reload
	s_wait_loadcnt 0x0
	v_dot2_f32_f16 v7, v8, v78, v7
	scratch_load_b32 v8, off, off offset:168 th:TH_LOAD_LU ; 4-byte Folded Reload
	;; [unrolled: 3-line block ×5, first 2 shown]
	v_dot2_f32_f16 v0, v73, v147, v1
	s_delay_alu instid0(VALU_DEP_1)
	v_cvt_f16_f32_e32 v0, v0
	s_wait_loadcnt 0x0
	v_dot2_f32_f16 v2, v8, v80, v2
	scratch_load_b32 v8, off, off offset:152 th:TH_LOAD_LU ; 4-byte Folded Reload
	v_dot2_f32_f16 v1, v71, v147, v2
	scratch_load_b32 v2, off, off offset:220 th:TH_LOAD_LU ; 4-byte Folded Reload
	v_cvt_f16_f32_e32 v1, v1
	s_wait_loadcnt 0x1
	v_dot2_f32_f16 v3, v8, v80, v3
	scratch_load_b32 v8, off, off offset:148 th:TH_LOAD_LU ; 4-byte Folded Reload
	s_wait_loadcnt 0x1
	v_dot2_f32_f16 v2, v2, v147, v3
	scratch_load_b32 v3, off, off offset:136 th:TH_LOAD_LU ; 4-byte Folded Reload
	v_cvt_f16_f32_e32 v2, v2
	s_wait_loadcnt 0x1
	v_dot2_f32_f16 v4, v8, v80, v4
	scratch_load_b32 v8, off, off offset:144 th:TH_LOAD_LU ; 4-byte Folded Reload
	s_wait_loadcnt 0x1
	v_dot2_f32_f16 v3, v3, v147, v4
	v_dot2_f32_f16 v4, v144, v147, v9
	scratch_load_b64 v[9:10], off, off offset:40 th:TH_LOAD_LU ; 8-byte Folded Reload
	v_cvt_f16_f32_e32 v3, v3
	v_cvt_f16_f32_e32 v4, v4
	s_wait_loadcnt 0x1
	v_dot2_f32_f16 v7, v8, v80, v7
	scratch_load_b32 v8, off, off offset:140 th:TH_LOAD_LU ; 4-byte Folded Reload
	s_wait_loadcnt 0x1
	s_wait_alu 0xfffe
	v_mad_co_u64_u32 v[9:10], null, s0, s3, v[9:10]
	scratch_load_b32 v10, off, off offset:32 th:TH_LOAD_LU ; 4-byte Folded Reload
	v_cmp_gt_i32_e32 vcc_lo, s9, v9
	s_wait_loadcnt 0x1
	v_dot2_f32_f16 v6, v8, v80, v6
	v_dot2_f32_f16 v8, v75, v80, v5
	;; [unrolled: 1-line block ×3, first 2 shown]
	s_delay_alu instid0(VALU_DEP_3) | instskip(NEXT) | instid1(VALU_DEP_3)
	v_dot2_f32_f16 v6, v43, v147, v6
	v_dot2_f32_f16 v7, v39, v147, v8
	scratch_load_b32 v8, off, off offset:36 th:TH_LOAD_LU ; 4-byte Folded Reload
	v_cvt_f16_f32_e32 v5, v5
	v_cvt_f16_f32_e32 v6, v6
	;; [unrolled: 1-line block ×3, first 2 shown]
	s_wait_loadcnt 0x0
	v_or_b32_e32 v8, s22, v8
	s_delay_alu instid0(VALU_DEP_1) | instskip(NEXT) | instid1(VALU_DEP_1)
	v_lshrrev_b32_e32 v8, 5, v8
	v_mul_lo_u32 v8, v8, s10
	s_delay_alu instid0(VALU_DEP_1) | instskip(NEXT) | instid1(VALU_DEP_1)
	v_and_or_b32 v8, v10, 24, v8
	v_mad_co_u64_u32 v[10:11], null, v8, s21, v[9:10]
	v_cmp_gt_i32_e64 s1, s8, v8
	v_add_nc_u32_e32 v9, s3, v9
	scratch_load_b32 v11, off, off offset:76 th:TH_LOAD_LU ; 4-byte Folded Reload
	s_and_b32 s0, s1, vcc_lo
	s_wait_alu 0xfffe
	v_cndmask_b32_e64 v12, 0x80000000, 0, s0
	v_cmp_gt_i32_e64 s0, s9, v9
	s_delay_alu instid0(VALU_DEP_2)
	v_lshl_add_u32 v12, v10, 1, v12
	s_and_b32 s1, s1, s0
	s_wait_alu 0xfffe
	v_cndmask_b32_e64 v9, 0x80000000, 0, s1
	s_wait_loadcnt 0x0
	v_cvt_f16_f32_e32 v11, v11
	buffer_store_b16 v11, v12, s[4:7], null offen
	scratch_load_b32 v12, off, off offset:108 th:TH_LOAD_LU ; 4-byte Folded Reload
	v_add_nc_u32_e32 v11, s3, v10
	s_delay_alu instid0(VALU_DEP_1)
	v_lshl_add_u32 v9, v11, 1, v9
	v_add_nc_u32_e32 v11, s21, v11
	s_wait_loadcnt 0x0
	v_cvt_f16_f32_e32 v12, v12
	buffer_store_b16 v12, v9, s[4:7], null offen
	scratch_load_b32 v12, off, off offset:104 th:TH_LOAD_LU ; 4-byte Folded Reload
	v_or_b32_e32 v9, 1, v8
	s_delay_alu instid0(VALU_DEP_1) | instskip(SKIP_4) | instid1(VALU_DEP_1)
	v_cmp_gt_i32_e64 s1, s8, v9
	s_and_b32 s2, s1, s0
	s_and_b32 s1, vcc_lo, s1
	s_wait_alu 0xfffe
	v_cndmask_b32_e64 v9, 0x80000000, 0, s2
	v_lshl_add_u32 v9, v11, 1, v9
	s_wait_loadcnt 0x0
	v_cvt_f16_f32_e32 v12, v12
	buffer_store_b16 v12, v9, s[4:7], null offen
	v_add_nc_u32_e32 v9, s21, v10
	scratch_load_b32 v10, off, off offset:72 th:TH_LOAD_LU ; 4-byte Folded Reload
	v_cndmask_b32_e64 v12, 0x80000000, 0, s1
	s_delay_alu instid0(VALU_DEP_1)
	v_lshl_add_u32 v12, v9, 1, v12
	v_add_nc_u32_e32 v9, s21, v9
	s_wait_loadcnt 0x0
	v_cvt_f16_f32_e32 v10, v10
	buffer_store_b16 v10, v12, s[4:7], null offen
	v_or_b32_e32 v10, 2, v8
	scratch_load_b32 v12, off, off offset:68 th:TH_LOAD_LU ; 4-byte Folded Reload
	v_cmp_gt_i32_e64 s1, s8, v10
	s_and_b32 s2, vcc_lo, s1
	s_and_b32 s1, s1, s0
	s_wait_alu 0xfffe
	v_cndmask_b32_e64 v10, 0x80000000, 0, s2
	s_delay_alu instid0(VALU_DEP_1)
	v_lshl_add_u32 v9, v9, 1, v10
	scratch_load_b32 v10, off, off offset:100 th:TH_LOAD_LU ; 4-byte Folded Reload
	s_wait_loadcnt 0x1
	v_cvt_f16_f32_e32 v12, v12
	buffer_store_b16 v12, v9, s[4:7], null offen
	v_add_nc_u32_e32 v9, s21, v11
	v_cndmask_b32_e64 v11, 0x80000000, 0, s1
	s_delay_alu instid0(VALU_DEP_1)
	v_lshl_add_u32 v11, v9, 1, v11
	v_add_nc_u32_e32 v9, s21, v9
	s_wait_loadcnt 0x0
	v_cvt_f16_f32_e32 v10, v10
	buffer_store_b16 v10, v11, s[4:7], null offen
	scratch_load_b32 v11, off, off offset:96 th:TH_LOAD_LU ; 4-byte Folded Reload
	v_or_b32_e32 v10, 3, v8
	s_delay_alu instid0(VALU_DEP_1)
	v_cmp_gt_i32_e64 s1, s8, v10
	s_and_b32 s2, s1, s0
	s_and_b32 s1, vcc_lo, s1
	s_wait_alu 0xfffe
	v_cndmask_b32_e64 v10, 0x80000000, 0, s2
	v_cndmask_b32_e64 v12, 0x80000000, 0, s1
	s_delay_alu instid0(VALU_DEP_2)
	v_lshl_add_u32 v10, v9, 1, v10
	s_wait_loadcnt 0x0
	v_cvt_f16_f32_e32 v11, v11
	buffer_store_b16 v11, v10, s[4:7], null offen
	scratch_load_b32 v11, off, off offset:64 th:TH_LOAD_LU ; 4-byte Folded Reload
	v_subrev_nc_u32_e32 v10, s3, v9
	v_add_nc_u32_e32 v9, s21, v9
	s_delay_alu instid0(VALU_DEP_2)
	v_lshl_add_u32 v12, v10, 1, v12
	v_add_nc_u32_e32 v10, s21, v10
	s_wait_loadcnt 0x0
	v_cvt_f16_f32_e32 v11, v11
	buffer_store_b16 v11, v12, s[4:7], null offen
	scratch_load_b32 v12, off, off offset:60 th:TH_LOAD_LU ; 4-byte Folded Reload
	v_or_b32_e32 v11, 4, v8
	s_delay_alu instid0(VALU_DEP_1) | instskip(SKIP_4) | instid1(VALU_DEP_1)
	v_cmp_gt_i32_e64 s1, s8, v11
	s_and_b32 s2, vcc_lo, s1
	s_and_b32 s1, s1, s0
	s_wait_alu 0xfffe
	v_cndmask_b32_e64 v11, 0x80000000, 0, s2
	v_lshl_add_u32 v10, v10, 1, v11
	v_cndmask_b32_e64 v11, 0x80000000, 0, s1
	s_delay_alu instid0(VALU_DEP_1)
	v_lshl_add_u32 v11, v9, 1, v11
	v_add_nc_u32_e32 v9, s21, v9
	s_wait_loadcnt 0x0
	v_cvt_f16_f32_e32 v12, v12
	buffer_store_b16 v12, v10, s[4:7], null offen
	scratch_load_b32 v10, off, off offset:92 th:TH_LOAD_LU ; 4-byte Folded Reload
	s_wait_loadcnt 0x0
	v_cvt_f16_f32_e32 v10, v10
	buffer_store_b16 v10, v11, s[4:7], null offen
	scratch_load_b32 v11, off, off offset:88 th:TH_LOAD_LU ; 4-byte Folded Reload
	v_or_b32_e32 v10, 5, v8
	s_delay_alu instid0(VALU_DEP_1)
	v_cmp_gt_i32_e64 s1, s8, v10
	s_and_b32 s2, s1, s0
	s_and_b32 s1, vcc_lo, s1
	s_wait_alu 0xfffe
	v_cndmask_b32_e64 v10, 0x80000000, 0, s2
	v_cndmask_b32_e64 v12, 0x80000000, 0, s1
	s_delay_alu instid0(VALU_DEP_2)
	v_lshl_add_u32 v10, v9, 1, v10
	s_wait_loadcnt 0x0
	v_cvt_f16_f32_e32 v11, v11
	buffer_store_b16 v11, v10, s[4:7], null offen
	scratch_load_b32 v11, off, off offset:56 th:TH_LOAD_LU ; 4-byte Folded Reload
	v_subrev_nc_u32_e32 v10, s3, v9
	v_add_nc_u32_e32 v9, s21, v9
	s_delay_alu instid0(VALU_DEP_2)
	v_lshl_add_u32 v12, v10, 1, v12
	v_add_nc_u32_e32 v10, s21, v10
	s_wait_loadcnt 0x0
	v_cvt_f16_f32_e32 v11, v11
	buffer_store_b16 v11, v12, s[4:7], null offen
	scratch_load_b32 v12, off, off offset:52 th:TH_LOAD_LU ; 4-byte Folded Reload
	v_or_b32_e32 v11, 6, v8
	v_or_b32_e32 v8, 7, v8
	s_delay_alu instid0(VALU_DEP_2) | instskip(SKIP_4) | instid1(VALU_DEP_1)
	v_cmp_gt_i32_e64 s1, s8, v11
	s_and_b32 s2, vcc_lo, s1
	s_and_b32 s1, s1, s0
	s_wait_alu 0xfffe
	v_cndmask_b32_e64 v11, 0x80000000, 0, s2
	v_lshl_add_u32 v10, v10, 1, v11
	v_cndmask_b32_e64 v11, 0x80000000, 0, s1
	v_cmp_gt_i32_e64 s1, s8, v8
	v_add_nc_u32_e32 v8, s10, v8
	s_mul_i32 s10, s10, s21
	v_lshl_add_u32 v11, v9, 1, v11
	s_and_b32 s2, s1, s0
	s_and_b32 s1, vcc_lo, s1
	s_wait_alu 0xfffe
	v_cndmask_b32_e64 v13, 0x80000000, 0, s1
	v_cmp_gt_i32_e64 s1, s8, v8
	s_wait_loadcnt 0x0
	v_cvt_f16_f32_e32 v12, v12
	buffer_store_b16 v12, v10, s[4:7], null offen
	scratch_load_b32 v10, off, off offset:84 th:TH_LOAD_LU ; 4-byte Folded Reload
	v_cndmask_b32_e64 v12, 0x80000000, 0, s2
	s_and_b32 s2, vcc_lo, s1
	s_and_b32 s1, s0, s1
	s_wait_loadcnt 0x0
	v_cvt_f16_f32_e32 v10, v10
	buffer_store_b16 v10, v11, s[4:7], null offen
	scratch_load_b32 v11, off, off offset:80 th:TH_LOAD_LU ; 4-byte Folded Reload
	v_add_nc_u32_e32 v10, s21, v9
	v_add_nc_u32_e32 v9, s10, v9
	s_delay_alu instid0(VALU_DEP_2)
	v_lshl_add_u32 v12, v10, 1, v12
	s_wait_loadcnt 0x0
	v_cvt_f16_f32_e32 v11, v11
	buffer_store_b16 v11, v12, s[4:7], null offen
	scratch_load_b32 v12, off, off offset:48 th:TH_LOAD_LU ; 4-byte Folded Reload
	v_subrev_nc_u32_e32 v11, s3, v10
	v_add_nc_u32_e32 v10, s10, v10
	s_delay_alu instid0(VALU_DEP_2)
	v_lshl_add_u32 v13, v11, 1, v13
	v_add_nc_u32_e32 v11, s10, v11
	s_wait_loadcnt 0x0
	v_cvt_f16_f32_e32 v12, v12
	buffer_store_b16 v12, v13, s[4:7], null offen
	v_cndmask_b32_e64 v13, 0x80000000, 0, s2
	v_cvt_f16_f32_e64 v12, v146
	s_delay_alu instid0(VALU_DEP_2) | instskip(SKIP_3) | instid1(VALU_DEP_2)
	v_lshl_add_u32 v11, v11, 1, v13
	buffer_store_b16 v12, v11, s[4:7], null offen
	v_cndmask_b32_e64 v11, 0x80000000, 0, s1
	v_cmp_ge_i32_e64 s1, s8, v8
	v_lshl_add_u32 v10, v10, 1, v11
	s_and_b32 s2, s0, s1
	s_and_b32 s1, vcc_lo, s1
	buffer_store_b16 v4, v10, s[4:7], null offen
	v_cndmask_b32_e64 v10, 0x80000000, 0, s2
	v_add_nc_u32_e32 v4, -1, v8
	s_delay_alu instid0(VALU_DEP_2)
	v_lshl_add_u32 v10, v9, 1, v10
	buffer_store_b16 v7, v10, s[4:7], null offen
	v_subrev_nc_u32_e32 v7, s3, v9
	v_cndmask_b32_e64 v10, 0x80000000, 0, s1
	v_cvt_f16_f32_e32 v9, v41
	v_cmp_ge_i32_e64 s1, s8, v4
	s_delay_alu instid0(VALU_DEP_3)
	v_lshl_add_u32 v10, v7, 1, v10
	v_subrev_nc_u32_e32 v7, s21, v7
	s_and_b32 s1, vcc_lo, s1
	s_wait_alu 0xfffe
	v_cndmask_b32_e64 v4, 0x80000000, 0, s1
	buffer_store_b16 v9, v10, s[4:7], null offen
	scratch_load_b32 v10, off, off offset:128 th:TH_LOAD_LU ; 4-byte Folded Reload
	v_add_nc_u32_e32 v9, -2, v8
	v_lshl_add_u32 v4, v7, 1, v4
	s_delay_alu instid0(VALU_DEP_2)
	v_cmp_gt_i32_e64 s1, s8, v9
	s_and_b32 s1, s0, s1
	s_wait_loadcnt 0x0
	v_cvt_f16_f32_e32 v10, v10
	buffer_store_b16 v10, v4, s[4:7], null offen
	v_add_nc_u32_e32 v4, s3, v7
	v_cndmask_b32_e64 v7, 0x80000000, 0, s1
	v_cmp_ge_i32_e64 s1, s8, v9
	s_delay_alu instid0(VALU_DEP_2)
	v_lshl_add_u32 v7, v4, 1, v7
	s_and_b32 s1, s0, s1
	v_subrev_nc_u32_e32 v4, s21, v4
	buffer_store_b16 v6, v7, s[4:7], null offen
	v_cndmask_b32_e64 v7, 0x80000000, 0, s1
	v_add_nc_u32_e32 v6, -3, v8
	s_delay_alu instid0(VALU_DEP_2) | instskip(NEXT) | instid1(VALU_DEP_2)
	v_lshl_add_u32 v7, v4, 1, v7
	v_cmp_gt_i32_e64 s1, s8, v6
	v_subrev_nc_u32_e32 v4, s3, v4
	buffer_store_b16 v5, v7, s[4:7], null offen
	scratch_load_b32 v5, off, off offset:132 th:TH_LOAD_LU ; 4-byte Folded Reload
	s_and_b32 s1, vcc_lo, s1
	s_wait_alu 0xfffe
	v_cndmask_b32_e64 v7, 0x80000000, 0, s1
	v_cmp_ge_i32_e64 s1, s8, v6
	s_delay_alu instid0(VALU_DEP_2) | instskip(SKIP_4) | instid1(VALU_DEP_1)
	v_lshl_add_u32 v7, v4, 1, v7
	s_and_b32 s1, vcc_lo, s1
	v_subrev_nc_u32_e32 v4, s21, v4
	s_wait_alu 0xfffe
	v_cndmask_b32_e64 v6, 0x80000000, 0, s1
	v_lshl_add_u32 v6, v4, 1, v6
	v_add_nc_u32_e32 v4, s3, v4
	s_wait_loadcnt 0x0
	v_cvt_f16_f32_e32 v5, v5
	buffer_store_b16 v5, v7, s[4:7], null offen
	scratch_load_b32 v7, off, off offset:124 th:TH_LOAD_LU ; 4-byte Folded Reload
	v_add_nc_u32_e32 v5, -4, v8
	s_delay_alu instid0(VALU_DEP_1)
	v_cmp_gt_i32_e64 s1, s8, v5
	s_and_b32 s1, s0, s1
	s_wait_loadcnt 0x0
	v_cvt_f16_f32_e32 v7, v7
	buffer_store_b16 v7, v6, s[4:7], null offen
	v_cndmask_b32_e64 v6, 0x80000000, 0, s1
	v_cmp_ge_i32_e64 s1, s8, v5
	s_delay_alu instid0(VALU_DEP_2)
	v_lshl_add_u32 v6, v4, 1, v6
	s_and_b32 s1, s0, s1
	v_subrev_nc_u32_e32 v4, s21, v4
	s_wait_alu 0xfffe
	v_cndmask_b32_e64 v5, 0x80000000, 0, s1
	buffer_store_b16 v3, v6, s[4:7], null offen
	v_add_nc_u32_e32 v3, -5, v8
	v_lshl_add_u32 v5, v4, 1, v5
	s_delay_alu instid0(VALU_DEP_2)
	v_cmp_gt_i32_e64 s1, s8, v3
	buffer_store_b16 v2, v5, s[4:7], null offen
	v_subrev_nc_u32_e32 v2, s3, v4
	scratch_load_b32 v4, off, off offset:112 th:TH_LOAD_LU ; 4-byte Folded Reload
	s_and_b32 s1, vcc_lo, s1
	s_wait_alu 0xfffe
	v_cndmask_b32_e64 v5, 0x80000000, 0, s1
	v_cmp_ge_i32_e64 s1, s8, v3
	s_delay_alu instid0(VALU_DEP_2) | instskip(SKIP_4) | instid1(VALU_DEP_1)
	v_lshl_add_u32 v5, v2, 1, v5
	s_and_b32 s1, vcc_lo, s1
	v_subrev_nc_u32_e32 v2, s21, v2
	s_wait_alu 0xfffe
	v_cndmask_b32_e64 v3, 0x80000000, 0, s1
	v_lshl_add_u32 v3, v2, 1, v3
	v_add_nc_u32_e32 v2, s3, v2
	s_wait_loadcnt 0x0
	v_cvt_f16_f32_e32 v4, v4
	buffer_store_b16 v4, v5, s[4:7], null offen
	scratch_load_b32 v5, off, off offset:120 th:TH_LOAD_LU ; 4-byte Folded Reload
	v_add_nc_u32_e32 v4, -6, v8
	s_delay_alu instid0(VALU_DEP_1)
	v_cmp_gt_i32_e64 s1, s8, v4
	s_and_b32 s1, s0, s1
	s_wait_loadcnt 0x0
	v_cvt_f16_f32_e32 v5, v5
	buffer_store_b16 v5, v3, s[4:7], null offen
	v_cndmask_b32_e64 v3, 0x80000000, 0, s1
	v_cmp_ge_i32_e64 s1, s8, v4
	s_delay_alu instid0(VALU_DEP_2)
	v_lshl_add_u32 v3, v2, 1, v3
	s_and_b32 s0, s0, s1
	v_subrev_nc_u32_e32 v2, s21, v2
	buffer_store_b16 v1, v3, s[4:7], null offen
	v_cndmask_b32_e64 v3, 0x80000000, 0, s0
	v_add_nc_u32_e32 v1, -7, v8
	s_delay_alu instid0(VALU_DEP_2) | instskip(NEXT) | instid1(VALU_DEP_2)
	v_lshl_add_u32 v3, v2, 1, v3
	v_cmp_gt_i32_e64 s0, s8, v1
	buffer_store_b16 v0, v3, s[4:7], null offen
	v_subrev_nc_u32_e32 v0, s3, v2
	scratch_load_b32 v2, off, off offset:116 th:TH_LOAD_LU ; 4-byte Folded Reload
	s_and_b32 s0, vcc_lo, s0
	s_wait_alu 0xfffe
	v_cndmask_b32_e64 v1, 0x80000000, 0, s0
	s_delay_alu instid0(VALU_DEP_1)
	v_lshl_add_u32 v0, v0, 1, v1
	s_wait_loadcnt 0x0
	v_cvt_f16_f32_e32 v2, v2
	buffer_store_b16 v2, v0, s[4:7], null offen
	s_nop 0
	s_sendmsg sendmsg(MSG_DEALLOC_VGPRS)
	s_endpgm
	.section	.rodata,"a",@progbits
	.p2align	6, 0x0
	.amdhsa_kernel _ZN2ck15kernel_gemm_dppINS_35GridwiseGemm_ak0mak1_bk0nbk1_mn_dppILi128EDF16_fDF16_LNS_25InMemoryDataOperationEnumE0ENS_13tensor_layout4gemm8RowMajorENS4_11ColumnMajorES5_NS_16tensor_operation12element_wise11PassThroughES9_S9_LNS7_6device18GemmSpecializationE4ELi64ELi64ELi64ELi32ELi8ELi8ELi2ELi2ELi2ENS_8SequenceIJLi4ELi32ELi1EEEENSC_IJLi1ELi0ELi2EEEESE_Li2ELi8ELi8ELb0ELb1ESD_SE_SE_Li2ELi2ELi2ELb0ELb1ENSC_IJLi0ELi2ELi4ELi1ELi3ELi5EEEELi5ELi1ELi1ELNS_15PipelineVersionE0EEELb0EEEvNT_8ArgumentE
		.amdhsa_group_segment_fixed_size 16624
		.amdhsa_private_segment_fixed_size 408
		.amdhsa_kernarg_size 80
		.amdhsa_user_sgpr_count 2
		.amdhsa_user_sgpr_dispatch_ptr 0
		.amdhsa_user_sgpr_queue_ptr 0
		.amdhsa_user_sgpr_kernarg_segment_ptr 1
		.amdhsa_user_sgpr_dispatch_id 0
		.amdhsa_user_sgpr_private_segment_size 0
		.amdhsa_wavefront_size32 1
		.amdhsa_uses_dynamic_stack 0
		.amdhsa_enable_private_segment 1
		.amdhsa_system_sgpr_workgroup_id_x 1
		.amdhsa_system_sgpr_workgroup_id_y 0
		.amdhsa_system_sgpr_workgroup_id_z 0
		.amdhsa_system_sgpr_workgroup_info 0
		.amdhsa_system_vgpr_workitem_id 0
		.amdhsa_next_free_vgpr 256
		.amdhsa_next_free_sgpr 26
		.amdhsa_reserve_vcc 1
		.amdhsa_float_round_mode_32 0
		.amdhsa_float_round_mode_16_64 0
		.amdhsa_float_denorm_mode_32 3
		.amdhsa_float_denorm_mode_16_64 3
		.amdhsa_fp16_overflow 0
		.amdhsa_workgroup_processor_mode 1
		.amdhsa_memory_ordered 1
		.amdhsa_forward_progress 1
		.amdhsa_inst_pref_size 181
		.amdhsa_round_robin_scheduling 0
		.amdhsa_exception_fp_ieee_invalid_op 0
		.amdhsa_exception_fp_denorm_src 0
		.amdhsa_exception_fp_ieee_div_zero 0
		.amdhsa_exception_fp_ieee_overflow 0
		.amdhsa_exception_fp_ieee_underflow 0
		.amdhsa_exception_fp_ieee_inexact 0
		.amdhsa_exception_int_div_zero 0
	.end_amdhsa_kernel
	.section	.text._ZN2ck15kernel_gemm_dppINS_35GridwiseGemm_ak0mak1_bk0nbk1_mn_dppILi128EDF16_fDF16_LNS_25InMemoryDataOperationEnumE0ENS_13tensor_layout4gemm8RowMajorENS4_11ColumnMajorES5_NS_16tensor_operation12element_wise11PassThroughES9_S9_LNS7_6device18GemmSpecializationE4ELi64ELi64ELi64ELi32ELi8ELi8ELi2ELi2ELi2ENS_8SequenceIJLi4ELi32ELi1EEEENSC_IJLi1ELi0ELi2EEEESE_Li2ELi8ELi8ELb0ELb1ESD_SE_SE_Li2ELi2ELi2ELb0ELb1ENSC_IJLi0ELi2ELi4ELi1ELi3ELi5EEEELi5ELi1ELi1ELNS_15PipelineVersionE0EEELb0EEEvNT_8ArgumentE,"axG",@progbits,_ZN2ck15kernel_gemm_dppINS_35GridwiseGemm_ak0mak1_bk0nbk1_mn_dppILi128EDF16_fDF16_LNS_25InMemoryDataOperationEnumE0ENS_13tensor_layout4gemm8RowMajorENS4_11ColumnMajorES5_NS_16tensor_operation12element_wise11PassThroughES9_S9_LNS7_6device18GemmSpecializationE4ELi64ELi64ELi64ELi32ELi8ELi8ELi2ELi2ELi2ENS_8SequenceIJLi4ELi32ELi1EEEENSC_IJLi1ELi0ELi2EEEESE_Li2ELi8ELi8ELb0ELb1ESD_SE_SE_Li2ELi2ELi2ELb0ELb1ENSC_IJLi0ELi2ELi4ELi1ELi3ELi5EEEELi5ELi1ELi1ELNS_15PipelineVersionE0EEELb0EEEvNT_8ArgumentE,comdat
.Lfunc_end2:
	.size	_ZN2ck15kernel_gemm_dppINS_35GridwiseGemm_ak0mak1_bk0nbk1_mn_dppILi128EDF16_fDF16_LNS_25InMemoryDataOperationEnumE0ENS_13tensor_layout4gemm8RowMajorENS4_11ColumnMajorES5_NS_16tensor_operation12element_wise11PassThroughES9_S9_LNS7_6device18GemmSpecializationE4ELi64ELi64ELi64ELi32ELi8ELi8ELi2ELi2ELi2ENS_8SequenceIJLi4ELi32ELi1EEEENSC_IJLi1ELi0ELi2EEEESE_Li2ELi8ELi8ELb0ELb1ESD_SE_SE_Li2ELi2ELi2ELb0ELb1ENSC_IJLi0ELi2ELi4ELi1ELi3ELi5EEEELi5ELi1ELi1ELNS_15PipelineVersionE0EEELb0EEEvNT_8ArgumentE, .Lfunc_end2-_ZN2ck15kernel_gemm_dppINS_35GridwiseGemm_ak0mak1_bk0nbk1_mn_dppILi128EDF16_fDF16_LNS_25InMemoryDataOperationEnumE0ENS_13tensor_layout4gemm8RowMajorENS4_11ColumnMajorES5_NS_16tensor_operation12element_wise11PassThroughES9_S9_LNS7_6device18GemmSpecializationE4ELi64ELi64ELi64ELi32ELi8ELi8ELi2ELi2ELi2ENS_8SequenceIJLi4ELi32ELi1EEEENSC_IJLi1ELi0ELi2EEEESE_Li2ELi8ELi8ELb0ELb1ESD_SE_SE_Li2ELi2ELi2ELb0ELb1ENSC_IJLi0ELi2ELi4ELi1ELi3ELi5EEEELi5ELi1ELi1ELNS_15PipelineVersionE0EEELb0EEEvNT_8ArgumentE
                                        ; -- End function
	.set _ZN2ck15kernel_gemm_dppINS_35GridwiseGemm_ak0mak1_bk0nbk1_mn_dppILi128EDF16_fDF16_LNS_25InMemoryDataOperationEnumE0ENS_13tensor_layout4gemm8RowMajorENS4_11ColumnMajorES5_NS_16tensor_operation12element_wise11PassThroughES9_S9_LNS7_6device18GemmSpecializationE4ELi64ELi64ELi64ELi32ELi8ELi8ELi2ELi2ELi2ENS_8SequenceIJLi4ELi32ELi1EEEENSC_IJLi1ELi0ELi2EEEESE_Li2ELi8ELi8ELb0ELb1ESD_SE_SE_Li2ELi2ELi2ELb0ELb1ENSC_IJLi0ELi2ELi4ELi1ELi3ELi5EEEELi5ELi1ELi1ELNS_15PipelineVersionE0EEELb0EEEvNT_8ArgumentE.num_vgpr, 256
	.set _ZN2ck15kernel_gemm_dppINS_35GridwiseGemm_ak0mak1_bk0nbk1_mn_dppILi128EDF16_fDF16_LNS_25InMemoryDataOperationEnumE0ENS_13tensor_layout4gemm8RowMajorENS4_11ColumnMajorES5_NS_16tensor_operation12element_wise11PassThroughES9_S9_LNS7_6device18GemmSpecializationE4ELi64ELi64ELi64ELi32ELi8ELi8ELi2ELi2ELi2ENS_8SequenceIJLi4ELi32ELi1EEEENSC_IJLi1ELi0ELi2EEEESE_Li2ELi8ELi8ELb0ELb1ESD_SE_SE_Li2ELi2ELi2ELb0ELb1ENSC_IJLi0ELi2ELi4ELi1ELi3ELi5EEEELi5ELi1ELi1ELNS_15PipelineVersionE0EEELb0EEEvNT_8ArgumentE.num_agpr, 0
	.set _ZN2ck15kernel_gemm_dppINS_35GridwiseGemm_ak0mak1_bk0nbk1_mn_dppILi128EDF16_fDF16_LNS_25InMemoryDataOperationEnumE0ENS_13tensor_layout4gemm8RowMajorENS4_11ColumnMajorES5_NS_16tensor_operation12element_wise11PassThroughES9_S9_LNS7_6device18GemmSpecializationE4ELi64ELi64ELi64ELi32ELi8ELi8ELi2ELi2ELi2ENS_8SequenceIJLi4ELi32ELi1EEEENSC_IJLi1ELi0ELi2EEEESE_Li2ELi8ELi8ELb0ELb1ESD_SE_SE_Li2ELi2ELi2ELb0ELb1ENSC_IJLi0ELi2ELi4ELi1ELi3ELi5EEEELi5ELi1ELi1ELNS_15PipelineVersionE0EEELb0EEEvNT_8ArgumentE.numbered_sgpr, 26
	.set _ZN2ck15kernel_gemm_dppINS_35GridwiseGemm_ak0mak1_bk0nbk1_mn_dppILi128EDF16_fDF16_LNS_25InMemoryDataOperationEnumE0ENS_13tensor_layout4gemm8RowMajorENS4_11ColumnMajorES5_NS_16tensor_operation12element_wise11PassThroughES9_S9_LNS7_6device18GemmSpecializationE4ELi64ELi64ELi64ELi32ELi8ELi8ELi2ELi2ELi2ENS_8SequenceIJLi4ELi32ELi1EEEENSC_IJLi1ELi0ELi2EEEESE_Li2ELi8ELi8ELb0ELb1ESD_SE_SE_Li2ELi2ELi2ELb0ELb1ENSC_IJLi0ELi2ELi4ELi1ELi3ELi5EEEELi5ELi1ELi1ELNS_15PipelineVersionE0EEELb0EEEvNT_8ArgumentE.num_named_barrier, 0
	.set _ZN2ck15kernel_gemm_dppINS_35GridwiseGemm_ak0mak1_bk0nbk1_mn_dppILi128EDF16_fDF16_LNS_25InMemoryDataOperationEnumE0ENS_13tensor_layout4gemm8RowMajorENS4_11ColumnMajorES5_NS_16tensor_operation12element_wise11PassThroughES9_S9_LNS7_6device18GemmSpecializationE4ELi64ELi64ELi64ELi32ELi8ELi8ELi2ELi2ELi2ENS_8SequenceIJLi4ELi32ELi1EEEENSC_IJLi1ELi0ELi2EEEESE_Li2ELi8ELi8ELb0ELb1ESD_SE_SE_Li2ELi2ELi2ELb0ELb1ENSC_IJLi0ELi2ELi4ELi1ELi3ELi5EEEELi5ELi1ELi1ELNS_15PipelineVersionE0EEELb0EEEvNT_8ArgumentE.private_seg_size, 408
	.set _ZN2ck15kernel_gemm_dppINS_35GridwiseGemm_ak0mak1_bk0nbk1_mn_dppILi128EDF16_fDF16_LNS_25InMemoryDataOperationEnumE0ENS_13tensor_layout4gemm8RowMajorENS4_11ColumnMajorES5_NS_16tensor_operation12element_wise11PassThroughES9_S9_LNS7_6device18GemmSpecializationE4ELi64ELi64ELi64ELi32ELi8ELi8ELi2ELi2ELi2ENS_8SequenceIJLi4ELi32ELi1EEEENSC_IJLi1ELi0ELi2EEEESE_Li2ELi8ELi8ELb0ELb1ESD_SE_SE_Li2ELi2ELi2ELb0ELb1ENSC_IJLi0ELi2ELi4ELi1ELi3ELi5EEEELi5ELi1ELi1ELNS_15PipelineVersionE0EEELb0EEEvNT_8ArgumentE.uses_vcc, 1
	.set _ZN2ck15kernel_gemm_dppINS_35GridwiseGemm_ak0mak1_bk0nbk1_mn_dppILi128EDF16_fDF16_LNS_25InMemoryDataOperationEnumE0ENS_13tensor_layout4gemm8RowMajorENS4_11ColumnMajorES5_NS_16tensor_operation12element_wise11PassThroughES9_S9_LNS7_6device18GemmSpecializationE4ELi64ELi64ELi64ELi32ELi8ELi8ELi2ELi2ELi2ENS_8SequenceIJLi4ELi32ELi1EEEENSC_IJLi1ELi0ELi2EEEESE_Li2ELi8ELi8ELb0ELb1ESD_SE_SE_Li2ELi2ELi2ELb0ELb1ENSC_IJLi0ELi2ELi4ELi1ELi3ELi5EEEELi5ELi1ELi1ELNS_15PipelineVersionE0EEELb0EEEvNT_8ArgumentE.uses_flat_scratch, 1
	.set _ZN2ck15kernel_gemm_dppINS_35GridwiseGemm_ak0mak1_bk0nbk1_mn_dppILi128EDF16_fDF16_LNS_25InMemoryDataOperationEnumE0ENS_13tensor_layout4gemm8RowMajorENS4_11ColumnMajorES5_NS_16tensor_operation12element_wise11PassThroughES9_S9_LNS7_6device18GemmSpecializationE4ELi64ELi64ELi64ELi32ELi8ELi8ELi2ELi2ELi2ENS_8SequenceIJLi4ELi32ELi1EEEENSC_IJLi1ELi0ELi2EEEESE_Li2ELi8ELi8ELb0ELb1ESD_SE_SE_Li2ELi2ELi2ELb0ELb1ENSC_IJLi0ELi2ELi4ELi1ELi3ELi5EEEELi5ELi1ELi1ELNS_15PipelineVersionE0EEELb0EEEvNT_8ArgumentE.has_dyn_sized_stack, 0
	.set _ZN2ck15kernel_gemm_dppINS_35GridwiseGemm_ak0mak1_bk0nbk1_mn_dppILi128EDF16_fDF16_LNS_25InMemoryDataOperationEnumE0ENS_13tensor_layout4gemm8RowMajorENS4_11ColumnMajorES5_NS_16tensor_operation12element_wise11PassThroughES9_S9_LNS7_6device18GemmSpecializationE4ELi64ELi64ELi64ELi32ELi8ELi8ELi2ELi2ELi2ENS_8SequenceIJLi4ELi32ELi1EEEENSC_IJLi1ELi0ELi2EEEESE_Li2ELi8ELi8ELb0ELb1ESD_SE_SE_Li2ELi2ELi2ELb0ELb1ENSC_IJLi0ELi2ELi4ELi1ELi3ELi5EEEELi5ELi1ELi1ELNS_15PipelineVersionE0EEELb0EEEvNT_8ArgumentE.has_recursion, 0
	.set _ZN2ck15kernel_gemm_dppINS_35GridwiseGemm_ak0mak1_bk0nbk1_mn_dppILi128EDF16_fDF16_LNS_25InMemoryDataOperationEnumE0ENS_13tensor_layout4gemm8RowMajorENS4_11ColumnMajorES5_NS_16tensor_operation12element_wise11PassThroughES9_S9_LNS7_6device18GemmSpecializationE4ELi64ELi64ELi64ELi32ELi8ELi8ELi2ELi2ELi2ENS_8SequenceIJLi4ELi32ELi1EEEENSC_IJLi1ELi0ELi2EEEESE_Li2ELi8ELi8ELb0ELb1ESD_SE_SE_Li2ELi2ELi2ELb0ELb1ENSC_IJLi0ELi2ELi4ELi1ELi3ELi5EEEELi5ELi1ELi1ELNS_15PipelineVersionE0EEELb0EEEvNT_8ArgumentE.has_indirect_call, 0
	.section	.AMDGPU.csdata,"",@progbits
; Kernel info:
; codeLenInByte = 23060
; TotalNumSgprs: 28
; NumVgprs: 256
; ScratchSize: 408
; MemoryBound: 0
; FloatMode: 240
; IeeeMode: 1
; LDSByteSize: 16624 bytes/workgroup (compile time only)
; SGPRBlocks: 0
; VGPRBlocks: 31
; NumSGPRsForWavesPerEU: 28
; NumVGPRsForWavesPerEU: 256
; Occupancy: 5
; WaveLimiterHint : 0
; COMPUTE_PGM_RSRC2:SCRATCH_EN: 1
; COMPUTE_PGM_RSRC2:USER_SGPR: 2
; COMPUTE_PGM_RSRC2:TRAP_HANDLER: 0
; COMPUTE_PGM_RSRC2:TGID_X_EN: 1
; COMPUTE_PGM_RSRC2:TGID_Y_EN: 0
; COMPUTE_PGM_RSRC2:TGID_Z_EN: 0
; COMPUTE_PGM_RSRC2:TIDIG_COMP_CNT: 0
	.section	.text._ZN2ck17naive_gemm_kernelINS_13tensor_layout4gemm8RowMajorENS2_11ColumnMajorES3_DF16_DF16_DF16_fNS_16tensor_operation12element_wise11PassThroughES7_S7_DF16_DF16_EEvPKT2_PKT3_PT4_iiiT6_T7_T8_,"axG",@progbits,_ZN2ck17naive_gemm_kernelINS_13tensor_layout4gemm8RowMajorENS2_11ColumnMajorES3_DF16_DF16_DF16_fNS_16tensor_operation12element_wise11PassThroughES7_S7_DF16_DF16_EEvPKT2_PKT3_PT4_iiiT6_T7_T8_,comdat
	.protected	_ZN2ck17naive_gemm_kernelINS_13tensor_layout4gemm8RowMajorENS2_11ColumnMajorES3_DF16_DF16_DF16_fNS_16tensor_operation12element_wise11PassThroughES7_S7_DF16_DF16_EEvPKT2_PKT3_PT4_iiiT6_T7_T8_ ; -- Begin function _ZN2ck17naive_gemm_kernelINS_13tensor_layout4gemm8RowMajorENS2_11ColumnMajorES3_DF16_DF16_DF16_fNS_16tensor_operation12element_wise11PassThroughES7_S7_DF16_DF16_EEvPKT2_PKT3_PT4_iiiT6_T7_T8_
	.globl	_ZN2ck17naive_gemm_kernelINS_13tensor_layout4gemm8RowMajorENS2_11ColumnMajorES3_DF16_DF16_DF16_fNS_16tensor_operation12element_wise11PassThroughES7_S7_DF16_DF16_EEvPKT2_PKT3_PT4_iiiT6_T7_T8_
	.p2align	8
	.type	_ZN2ck17naive_gemm_kernelINS_13tensor_layout4gemm8RowMajorENS2_11ColumnMajorES3_DF16_DF16_DF16_fNS_16tensor_operation12element_wise11PassThroughES7_S7_DF16_DF16_EEvPKT2_PKT3_PT4_iiiT6_T7_T8_,@function
_ZN2ck17naive_gemm_kernelINS_13tensor_layout4gemm8RowMajorENS2_11ColumnMajorES3_DF16_DF16_DF16_fNS_16tensor_operation12element_wise11PassThroughES7_S7_DF16_DF16_EEvPKT2_PKT3_PT4_iiiT6_T7_T8_: ; @_ZN2ck17naive_gemm_kernelINS_13tensor_layout4gemm8RowMajorENS2_11ColumnMajorES3_DF16_DF16_DF16_fNS_16tensor_operation12element_wise11PassThroughES7_S7_DF16_DF16_EEvPKT2_PKT3_PT4_iiiT6_T7_T8_
; %bb.0:
	s_clause 0x1
	s_load_b32 s2, s[0:1], 0x34
	s_load_b96 s[4:6], s[0:1], 0x18
	v_and_b32_e32 v1, 0x3ff, v0
	v_bfe_u32 v2, v0, 10, 10
	s_wait_kmcnt 0x0
	s_lshr_b32 s3, s2, 16
	s_and_b32 s2, s2, 0xffff
	s_delay_alu instid0(VALU_DEP_1) | instid1(SALU_CYCLE_1)
	v_mad_co_u64_u32 v[0:1], null, ttmp9, s2, v[1:2]
	v_mad_co_u64_u32 v[1:2], null, ttmp7, s3, v[2:3]
	s_delay_alu instid0(VALU_DEP_2) | instskip(NEXT) | instid1(VALU_DEP_2)
	v_cmp_gt_i32_e32 vcc_lo, s4, v0
	v_cmp_gt_i32_e64 s2, s5, v1
	s_and_b32 s2, vcc_lo, s2
	s_wait_alu 0xfffe
	s_and_saveexec_b32 s3, s2
	s_cbranch_execz .LBB3_7
; %bb.1:
	s_load_b64 s[2:3], s[0:1], 0x10
	s_cmp_lt_i32 s6, 1
	s_cbranch_scc1 .LBB3_5
; %bb.2:
	s_load_b128 s[8:11], s[0:1], 0x0
	v_mul_lo_u32 v2, v1, s6
	v_mul_lo_u32 v4, v0, s6
	v_mov_b32_e32 v6, 0
	s_delay_alu instid0(VALU_DEP_3) | instskip(NEXT) | instid1(VALU_DEP_3)
	v_ashrrev_i32_e32 v3, 31, v2
	v_ashrrev_i32_e32 v5, 31, v4
	s_delay_alu instid0(VALU_DEP_2) | instskip(NEXT) | instid1(VALU_DEP_2)
	v_lshlrev_b64_e32 v[2:3], 1, v[2:3]
	v_lshlrev_b64_e32 v[4:5], 1, v[4:5]
	s_wait_kmcnt 0x0
	s_delay_alu instid0(VALU_DEP_2) | instskip(NEXT) | instid1(VALU_DEP_1)
	v_add_co_u32 v2, vcc_lo, s10, v2
	v_add_co_ci_u32_e64 v3, null, s11, v3, vcc_lo
	s_delay_alu instid0(VALU_DEP_3)
	v_add_co_u32 v4, vcc_lo, s8, v4
	s_wait_alu 0xfffd
	v_add_co_ci_u32_e64 v5, null, s9, v5, vcc_lo
.LBB3_3:                                ; =>This Inner Loop Header: Depth=1
	global_load_u16 v7, v[4:5], off
	global_load_u16 v8, v[2:3], off
	v_add_co_u32 v2, vcc_lo, v2, 2
	s_wait_alu 0xfffd
	v_add_co_ci_u32_e64 v3, null, 0, v3, vcc_lo
	v_add_co_u32 v4, vcc_lo, v4, 2
	s_wait_alu 0xfffd
	v_add_co_ci_u32_e64 v5, null, 0, v5, vcc_lo
	s_add_co_i32 s6, s6, -1
	s_wait_alu 0xfffe
	s_cmp_eq_u32 s6, 0
	s_wait_loadcnt 0x0
	v_fma_mix_f32 v6, v7, v8, v6 op_sel_hi:[1,1,0]
	s_cbranch_scc0 .LBB3_3
; %bb.4:
	s_delay_alu instid0(VALU_DEP_1)
	v_cvt_f16_f32_e32 v2, v6
	s_branch .LBB3_6
.LBB3_5:
	v_mov_b32_e32 v2, 0
.LBB3_6:
	s_delay_alu instid0(VALU_DEP_1) | instskip(NEXT) | instid1(VALU_DEP_1)
	v_mad_co_u64_u32 v[0:1], null, v0, s5, v[1:2]
	v_ashrrev_i32_e32 v1, 31, v0
	s_delay_alu instid0(VALU_DEP_1) | instskip(SKIP_1) | instid1(VALU_DEP_1)
	v_lshlrev_b64_e32 v[0:1], 1, v[0:1]
	s_wait_kmcnt 0x0
	v_add_co_u32 v0, vcc_lo, s2, v0
	s_wait_alu 0xfffd
	s_delay_alu instid0(VALU_DEP_2)
	v_add_co_ci_u32_e64 v1, null, s3, v1, vcc_lo
	global_store_b16 v[0:1], v2, off
.LBB3_7:
	s_endpgm
	.section	.rodata,"a",@progbits
	.p2align	6, 0x0
	.amdhsa_kernel _ZN2ck17naive_gemm_kernelINS_13tensor_layout4gemm8RowMajorENS2_11ColumnMajorES3_DF16_DF16_DF16_fNS_16tensor_operation12element_wise11PassThroughES7_S7_DF16_DF16_EEvPKT2_PKT3_PT4_iiiT6_T7_T8_
		.amdhsa_group_segment_fixed_size 0
		.amdhsa_private_segment_fixed_size 0
		.amdhsa_kernarg_size 296
		.amdhsa_user_sgpr_count 2
		.amdhsa_user_sgpr_dispatch_ptr 0
		.amdhsa_user_sgpr_queue_ptr 0
		.amdhsa_user_sgpr_kernarg_segment_ptr 1
		.amdhsa_user_sgpr_dispatch_id 0
		.amdhsa_user_sgpr_private_segment_size 0
		.amdhsa_wavefront_size32 1
		.amdhsa_uses_dynamic_stack 0
		.amdhsa_enable_private_segment 0
		.amdhsa_system_sgpr_workgroup_id_x 1
		.amdhsa_system_sgpr_workgroup_id_y 1
		.amdhsa_system_sgpr_workgroup_id_z 0
		.amdhsa_system_sgpr_workgroup_info 0
		.amdhsa_system_vgpr_workitem_id 1
		.amdhsa_next_free_vgpr 9
		.amdhsa_next_free_sgpr 12
		.amdhsa_reserve_vcc 1
		.amdhsa_float_round_mode_32 0
		.amdhsa_float_round_mode_16_64 0
		.amdhsa_float_denorm_mode_32 3
		.amdhsa_float_denorm_mode_16_64 3
		.amdhsa_fp16_overflow 0
		.amdhsa_workgroup_processor_mode 1
		.amdhsa_memory_ordered 1
		.amdhsa_forward_progress 1
		.amdhsa_inst_pref_size 4
		.amdhsa_round_robin_scheduling 0
		.amdhsa_exception_fp_ieee_invalid_op 0
		.amdhsa_exception_fp_denorm_src 0
		.amdhsa_exception_fp_ieee_div_zero 0
		.amdhsa_exception_fp_ieee_overflow 0
		.amdhsa_exception_fp_ieee_underflow 0
		.amdhsa_exception_fp_ieee_inexact 0
		.amdhsa_exception_int_div_zero 0
	.end_amdhsa_kernel
	.section	.text._ZN2ck17naive_gemm_kernelINS_13tensor_layout4gemm8RowMajorENS2_11ColumnMajorES3_DF16_DF16_DF16_fNS_16tensor_operation12element_wise11PassThroughES7_S7_DF16_DF16_EEvPKT2_PKT3_PT4_iiiT6_T7_T8_,"axG",@progbits,_ZN2ck17naive_gemm_kernelINS_13tensor_layout4gemm8RowMajorENS2_11ColumnMajorES3_DF16_DF16_DF16_fNS_16tensor_operation12element_wise11PassThroughES7_S7_DF16_DF16_EEvPKT2_PKT3_PT4_iiiT6_T7_T8_,comdat
.Lfunc_end3:
	.size	_ZN2ck17naive_gemm_kernelINS_13tensor_layout4gemm8RowMajorENS2_11ColumnMajorES3_DF16_DF16_DF16_fNS_16tensor_operation12element_wise11PassThroughES7_S7_DF16_DF16_EEvPKT2_PKT3_PT4_iiiT6_T7_T8_, .Lfunc_end3-_ZN2ck17naive_gemm_kernelINS_13tensor_layout4gemm8RowMajorENS2_11ColumnMajorES3_DF16_DF16_DF16_fNS_16tensor_operation12element_wise11PassThroughES7_S7_DF16_DF16_EEvPKT2_PKT3_PT4_iiiT6_T7_T8_
                                        ; -- End function
	.set _ZN2ck17naive_gemm_kernelINS_13tensor_layout4gemm8RowMajorENS2_11ColumnMajorES3_DF16_DF16_DF16_fNS_16tensor_operation12element_wise11PassThroughES7_S7_DF16_DF16_EEvPKT2_PKT3_PT4_iiiT6_T7_T8_.num_vgpr, 9
	.set _ZN2ck17naive_gemm_kernelINS_13tensor_layout4gemm8RowMajorENS2_11ColumnMajorES3_DF16_DF16_DF16_fNS_16tensor_operation12element_wise11PassThroughES7_S7_DF16_DF16_EEvPKT2_PKT3_PT4_iiiT6_T7_T8_.num_agpr, 0
	.set _ZN2ck17naive_gemm_kernelINS_13tensor_layout4gemm8RowMajorENS2_11ColumnMajorES3_DF16_DF16_DF16_fNS_16tensor_operation12element_wise11PassThroughES7_S7_DF16_DF16_EEvPKT2_PKT3_PT4_iiiT6_T7_T8_.numbered_sgpr, 12
	.set _ZN2ck17naive_gemm_kernelINS_13tensor_layout4gemm8RowMajorENS2_11ColumnMajorES3_DF16_DF16_DF16_fNS_16tensor_operation12element_wise11PassThroughES7_S7_DF16_DF16_EEvPKT2_PKT3_PT4_iiiT6_T7_T8_.num_named_barrier, 0
	.set _ZN2ck17naive_gemm_kernelINS_13tensor_layout4gemm8RowMajorENS2_11ColumnMajorES3_DF16_DF16_DF16_fNS_16tensor_operation12element_wise11PassThroughES7_S7_DF16_DF16_EEvPKT2_PKT3_PT4_iiiT6_T7_T8_.private_seg_size, 0
	.set _ZN2ck17naive_gemm_kernelINS_13tensor_layout4gemm8RowMajorENS2_11ColumnMajorES3_DF16_DF16_DF16_fNS_16tensor_operation12element_wise11PassThroughES7_S7_DF16_DF16_EEvPKT2_PKT3_PT4_iiiT6_T7_T8_.uses_vcc, 1
	.set _ZN2ck17naive_gemm_kernelINS_13tensor_layout4gemm8RowMajorENS2_11ColumnMajorES3_DF16_DF16_DF16_fNS_16tensor_operation12element_wise11PassThroughES7_S7_DF16_DF16_EEvPKT2_PKT3_PT4_iiiT6_T7_T8_.uses_flat_scratch, 0
	.set _ZN2ck17naive_gemm_kernelINS_13tensor_layout4gemm8RowMajorENS2_11ColumnMajorES3_DF16_DF16_DF16_fNS_16tensor_operation12element_wise11PassThroughES7_S7_DF16_DF16_EEvPKT2_PKT3_PT4_iiiT6_T7_T8_.has_dyn_sized_stack, 0
	.set _ZN2ck17naive_gemm_kernelINS_13tensor_layout4gemm8RowMajorENS2_11ColumnMajorES3_DF16_DF16_DF16_fNS_16tensor_operation12element_wise11PassThroughES7_S7_DF16_DF16_EEvPKT2_PKT3_PT4_iiiT6_T7_T8_.has_recursion, 0
	.set _ZN2ck17naive_gemm_kernelINS_13tensor_layout4gemm8RowMajorENS2_11ColumnMajorES3_DF16_DF16_DF16_fNS_16tensor_operation12element_wise11PassThroughES7_S7_DF16_DF16_EEvPKT2_PKT3_PT4_iiiT6_T7_T8_.has_indirect_call, 0
	.section	.AMDGPU.csdata,"",@progbits
; Kernel info:
; codeLenInByte = 396
; TotalNumSgprs: 14
; NumVgprs: 9
; ScratchSize: 0
; MemoryBound: 0
; FloatMode: 240
; IeeeMode: 1
; LDSByteSize: 0 bytes/workgroup (compile time only)
; SGPRBlocks: 0
; VGPRBlocks: 1
; NumSGPRsForWavesPerEU: 14
; NumVGPRsForWavesPerEU: 9
; Occupancy: 16
; WaveLimiterHint : 0
; COMPUTE_PGM_RSRC2:SCRATCH_EN: 0
; COMPUTE_PGM_RSRC2:USER_SGPR: 2
; COMPUTE_PGM_RSRC2:TRAP_HANDLER: 0
; COMPUTE_PGM_RSRC2:TGID_X_EN: 1
; COMPUTE_PGM_RSRC2:TGID_Y_EN: 1
; COMPUTE_PGM_RSRC2:TGID_Z_EN: 0
; COMPUTE_PGM_RSRC2:TIDIG_COMP_CNT: 1
	.section	.AMDGPU.gpr_maximums,"",@progbits
	.set amdgpu.max_num_vgpr, 0
	.set amdgpu.max_num_agpr, 0
	.set amdgpu.max_num_sgpr, 0
	.section	.AMDGPU.csdata,"",@progbits
	.protected	_ZN2ck35GridwiseGemm_ak0mak1_bk0nbk1_mn_dppILi128EDF16_fDF16_LNS_25InMemoryDataOperationEnumE0ENS_13tensor_layout4gemm8RowMajorENS3_11ColumnMajorES4_NS_16tensor_operation12element_wise11PassThroughES8_S8_LNS6_6device18GemmSpecializationE4ELi64ELi64ELi64ELi32ELi8ELi8ELi2ELi2ELi2ENS_8SequenceIJLi4ELi32ELi1EEEENSB_IJLi1ELi0ELi2EEEESD_Li2ELi8ELi8ELb0ELb1ESC_SD_SD_Li2ELi2ELi2ELb0ELb1ENSB_IJLi0ELi2ELi4ELi1ELi3ELi5EEEELi5ELi1ELi1ELNS_15PipelineVersionE0EE13matrix_padderE ; @_ZN2ck35GridwiseGemm_ak0mak1_bk0nbk1_mn_dppILi128EDF16_fDF16_LNS_25InMemoryDataOperationEnumE0ENS_13tensor_layout4gemm8RowMajorENS3_11ColumnMajorES4_NS_16tensor_operation12element_wise11PassThroughES8_S8_LNS6_6device18GemmSpecializationE4ELi64ELi64ELi64ELi32ELi8ELi8ELi2ELi2ELi2ENS_8SequenceIJLi4ELi32ELi1EEEENSB_IJLi1ELi0ELi2EEEESD_Li2ELi8ELi8ELb0ELb1ESC_SD_SD_Li2ELi2ELi2ELb0ELb1ENSB_IJLi0ELi2ELi4ELi1ELi3ELi5EEEELi5ELi1ELi1ELNS_15PipelineVersionE0EE13matrix_padderE
	.type	_ZN2ck35GridwiseGemm_ak0mak1_bk0nbk1_mn_dppILi128EDF16_fDF16_LNS_25InMemoryDataOperationEnumE0ENS_13tensor_layout4gemm8RowMajorENS3_11ColumnMajorES4_NS_16tensor_operation12element_wise11PassThroughES8_S8_LNS6_6device18GemmSpecializationE4ELi64ELi64ELi64ELi32ELi8ELi8ELi2ELi2ELi2ENS_8SequenceIJLi4ELi32ELi1EEEENSB_IJLi1ELi0ELi2EEEESD_Li2ELi8ELi8ELb0ELb1ESC_SD_SD_Li2ELi2ELi2ELb0ELb1ENSB_IJLi0ELi2ELi4ELi1ELi3ELi5EEEELi5ELi1ELi1ELNS_15PipelineVersionE0EE13matrix_padderE,@object
	.section	.rodata._ZN2ck35GridwiseGemm_ak0mak1_bk0nbk1_mn_dppILi128EDF16_fDF16_LNS_25InMemoryDataOperationEnumE0ENS_13tensor_layout4gemm8RowMajorENS3_11ColumnMajorES4_NS_16tensor_operation12element_wise11PassThroughES8_S8_LNS6_6device18GemmSpecializationE4ELi64ELi64ELi64ELi32ELi8ELi8ELi2ELi2ELi2ENS_8SequenceIJLi4ELi32ELi1EEEENSB_IJLi1ELi0ELi2EEEESD_Li2ELi8ELi8ELb0ELb1ESC_SD_SD_Li2ELi2ELi2ELb0ELb1ENSB_IJLi0ELi2ELi4ELi1ELi3ELi5EEEELi5ELi1ELi1ELNS_15PipelineVersionE0EE13matrix_padderE,"aG",@progbits,_ZN2ck35GridwiseGemm_ak0mak1_bk0nbk1_mn_dppILi128EDF16_fDF16_LNS_25InMemoryDataOperationEnumE0ENS_13tensor_layout4gemm8RowMajorENS3_11ColumnMajorES4_NS_16tensor_operation12element_wise11PassThroughES8_S8_LNS6_6device18GemmSpecializationE4ELi64ELi64ELi64ELi32ELi8ELi8ELi2ELi2ELi2ENS_8SequenceIJLi4ELi32ELi1EEEENSB_IJLi1ELi0ELi2EEEESD_Li2ELi8ELi8ELb0ELb1ESC_SD_SD_Li2ELi2ELi2ELb0ELb1ENSB_IJLi0ELi2ELi4ELi1ELi3ELi5EEEELi5ELi1ELi1ELNS_15PipelineVersionE0EE13matrix_padderE,comdat
	.weak	_ZN2ck35GridwiseGemm_ak0mak1_bk0nbk1_mn_dppILi128EDF16_fDF16_LNS_25InMemoryDataOperationEnumE0ENS_13tensor_layout4gemm8RowMajorENS3_11ColumnMajorES4_NS_16tensor_operation12element_wise11PassThroughES8_S8_LNS6_6device18GemmSpecializationE4ELi64ELi64ELi64ELi32ELi8ELi8ELi2ELi2ELi2ENS_8SequenceIJLi4ELi32ELi1EEEENSB_IJLi1ELi0ELi2EEEESD_Li2ELi8ELi8ELb0ELb1ESC_SD_SD_Li2ELi2ELi2ELb0ELb1ENSB_IJLi0ELi2ELi4ELi1ELi3ELi5EEEELi5ELi1ELi1ELNS_15PipelineVersionE0EE13matrix_padderE
	.p2align	2, 0x0
_ZN2ck35GridwiseGemm_ak0mak1_bk0nbk1_mn_dppILi128EDF16_fDF16_LNS_25InMemoryDataOperationEnumE0ENS_13tensor_layout4gemm8RowMajorENS3_11ColumnMajorES4_NS_16tensor_operation12element_wise11PassThroughES8_S8_LNS6_6device18GemmSpecializationE4ELi64ELi64ELi64ELi32ELi8ELi8ELi2ELi2ELi2ENS_8SequenceIJLi4ELi32ELi1EEEENSB_IJLi1ELi0ELi2EEEESD_Li2ELi8ELi8ELb0ELb1ESC_SD_SD_Li2ELi2ELi2ELb0ELb1ENSB_IJLi0ELi2ELi4ELi1ELi3ELi5EEEELi5ELi1ELi1ELNS_15PipelineVersionE0EE13matrix_padderE:
	.long	64                              ; 0x40
	.long	64                              ; 0x40
	;; [unrolled: 1-line block ×3, first 2 shown]
	.size	_ZN2ck35GridwiseGemm_ak0mak1_bk0nbk1_mn_dppILi128EDF16_fDF16_LNS_25InMemoryDataOperationEnumE0ENS_13tensor_layout4gemm8RowMajorENS3_11ColumnMajorES4_NS_16tensor_operation12element_wise11PassThroughES8_S8_LNS6_6device18GemmSpecializationE4ELi64ELi64ELi64ELi32ELi8ELi8ELi2ELi2ELi2ENS_8SequenceIJLi4ELi32ELi1EEEENSB_IJLi1ELi0ELi2EEEESD_Li2ELi8ELi8ELb0ELb1ESC_SD_SD_Li2ELi2ELi2ELb0ELb1ENSB_IJLi0ELi2ELi4ELi1ELi3ELi5EEEELi5ELi1ELi1ELNS_15PipelineVersionE0EE13matrix_padderE, 12

	.protected	_ZN2ck45BlockwiseGemmDpp_ak0mak1_bk0nbk1_m0n0m1n1m2n2ILi128EDF16_fKNS_16TensorDescriptorINS_5TupleIJNS_5EmbedINS2_IJNS_17integral_constantIiLi8EEENS4_IiLi64EEES5_EEENS2_IJNS4_IiLi520EEES5_NS4_IiLi1EEEEEELb0EEEEEENS2_IJNS_8SequenceIJLi0EEEEEEENS2_IJNSD_IJLi1ELi2ELi3EEEEEEESG_NS4_IlLl4152EEEEEKNS1_INS2_IJNS3_INS2_IJNS4_IiLi32EEES6_NS4_IiLi2EEEEEENS2_IJNS4_IiLi130EEESM_S9_EEELb0EEEEEESF_SH_SG_NS4_IlLl4158EEEEELi32ELi8ELi2ELi2ELi8EE6MWavesE ; @_ZN2ck45BlockwiseGemmDpp_ak0mak1_bk0nbk1_m0n0m1n1m2n2ILi128EDF16_fKNS_16TensorDescriptorINS_5TupleIJNS_5EmbedINS2_IJNS_17integral_constantIiLi8EEENS4_IiLi64EEES5_EEENS2_IJNS4_IiLi520EEES5_NS4_IiLi1EEEEEELb0EEEEEENS2_IJNS_8SequenceIJLi0EEEEEEENS2_IJNSD_IJLi1ELi2ELi3EEEEEEESG_NS4_IlLl4152EEEEEKNS1_INS2_IJNS3_INS2_IJNS4_IiLi32EEES6_NS4_IiLi2EEEEEENS2_IJNS4_IiLi130EEESM_S9_EEELb0EEEEEESF_SH_SG_NS4_IlLl4158EEEEELi32ELi8ELi2ELi2ELi8EE6MWavesE
	.type	_ZN2ck45BlockwiseGemmDpp_ak0mak1_bk0nbk1_m0n0m1n1m2n2ILi128EDF16_fKNS_16TensorDescriptorINS_5TupleIJNS_5EmbedINS2_IJNS_17integral_constantIiLi8EEENS4_IiLi64EEES5_EEENS2_IJNS4_IiLi520EEES5_NS4_IiLi1EEEEEELb0EEEEEENS2_IJNS_8SequenceIJLi0EEEEEEENS2_IJNSD_IJLi1ELi2ELi3EEEEEEESG_NS4_IlLl4152EEEEEKNS1_INS2_IJNS3_INS2_IJNS4_IiLi32EEES6_NS4_IiLi2EEEEEENS2_IJNS4_IiLi130EEESM_S9_EEELb0EEEEEESF_SH_SG_NS4_IlLl4158EEEEELi32ELi8ELi2ELi2ELi8EE6MWavesE,@object
	.section	.rodata._ZN2ck45BlockwiseGemmDpp_ak0mak1_bk0nbk1_m0n0m1n1m2n2ILi128EDF16_fKNS_16TensorDescriptorINS_5TupleIJNS_5EmbedINS2_IJNS_17integral_constantIiLi8EEENS4_IiLi64EEES5_EEENS2_IJNS4_IiLi520EEES5_NS4_IiLi1EEEEEELb0EEEEEENS2_IJNS_8SequenceIJLi0EEEEEEENS2_IJNSD_IJLi1ELi2ELi3EEEEEEESG_NS4_IlLl4152EEEEEKNS1_INS2_IJNS3_INS2_IJNS4_IiLi32EEES6_NS4_IiLi2EEEEEENS2_IJNS4_IiLi130EEESM_S9_EEELb0EEEEEESF_SH_SG_NS4_IlLl4158EEEEELi32ELi8ELi2ELi2ELi8EE6MWavesE,"aG",@progbits,_ZN2ck45BlockwiseGemmDpp_ak0mak1_bk0nbk1_m0n0m1n1m2n2ILi128EDF16_fKNS_16TensorDescriptorINS_5TupleIJNS_5EmbedINS2_IJNS_17integral_constantIiLi8EEENS4_IiLi64EEES5_EEENS2_IJNS4_IiLi520EEES5_NS4_IiLi1EEEEEELb0EEEEEENS2_IJNS_8SequenceIJLi0EEEEEEENS2_IJNSD_IJLi1ELi2ELi3EEEEEEESG_NS4_IlLl4152EEEEEKNS1_INS2_IJNS3_INS2_IJNS4_IiLi32EEES6_NS4_IiLi2EEEEEENS2_IJNS4_IiLi130EEESM_S9_EEELb0EEEEEESF_SH_SG_NS4_IlLl4158EEEEELi32ELi8ELi2ELi2ELi8EE6MWavesE,comdat
	.weak	_ZN2ck45BlockwiseGemmDpp_ak0mak1_bk0nbk1_m0n0m1n1m2n2ILi128EDF16_fKNS_16TensorDescriptorINS_5TupleIJNS_5EmbedINS2_IJNS_17integral_constantIiLi8EEENS4_IiLi64EEES5_EEENS2_IJNS4_IiLi520EEES5_NS4_IiLi1EEEEEELb0EEEEEENS2_IJNS_8SequenceIJLi0EEEEEEENS2_IJNSD_IJLi1ELi2ELi3EEEEEEESG_NS4_IlLl4152EEEEEKNS1_INS2_IJNS3_INS2_IJNS4_IiLi32EEES6_NS4_IiLi2EEEEEENS2_IJNS4_IiLi130EEESM_S9_EEELb0EEEEEESF_SH_SG_NS4_IlLl4158EEEEELi32ELi8ELi2ELi2ELi8EE6MWavesE
	.p2align	2, 0x0
_ZN2ck45BlockwiseGemmDpp_ak0mak1_bk0nbk1_m0n0m1n1m2n2ILi128EDF16_fKNS_16TensorDescriptorINS_5TupleIJNS_5EmbedINS2_IJNS_17integral_constantIiLi8EEENS4_IiLi64EEES5_EEENS2_IJNS4_IiLi520EEES5_NS4_IiLi1EEEEEELb0EEEEEENS2_IJNS_8SequenceIJLi0EEEEEEENS2_IJNSD_IJLi1ELi2ELi3EEEEEEESG_NS4_IlLl4152EEEEEKNS1_INS2_IJNS3_INS2_IJNS4_IiLi32EEES6_NS4_IiLi2EEEEEENS2_IJNS4_IiLi130EEESM_S9_EEELb0EEEEEESF_SH_SG_NS4_IlLl4158EEEEELi32ELi8ELi2ELi2ELi8EE6MWavesE:
	.long	1                               ; 0x1
	.size	_ZN2ck45BlockwiseGemmDpp_ak0mak1_bk0nbk1_m0n0m1n1m2n2ILi128EDF16_fKNS_16TensorDescriptorINS_5TupleIJNS_5EmbedINS2_IJNS_17integral_constantIiLi8EEENS4_IiLi64EEES5_EEENS2_IJNS4_IiLi520EEES5_NS4_IiLi1EEEEEELb0EEEEEENS2_IJNS_8SequenceIJLi0EEEEEEENS2_IJNSD_IJLi1ELi2ELi3EEEEEEESG_NS4_IlLl4152EEEEEKNS1_INS2_IJNS3_INS2_IJNS4_IiLi32EEES6_NS4_IiLi2EEEEEENS2_IJNS4_IiLi130EEESM_S9_EEELb0EEEEEESF_SH_SG_NS4_IlLl4158EEEEELi32ELi8ELi2ELi2ELi8EE6MWavesE, 4

	.protected	_ZN2ck45BlockwiseGemmDpp_ak0mak1_bk0nbk1_m0n0m1n1m2n2ILi128EDF16_fKNS_16TensorDescriptorINS_5TupleIJNS_5EmbedINS2_IJNS_17integral_constantIiLi8EEENS4_IiLi64EEES5_EEENS2_IJNS4_IiLi520EEES5_NS4_IiLi1EEEEEELb0EEEEEENS2_IJNS_8SequenceIJLi0EEEEEEENS2_IJNSD_IJLi1ELi2ELi3EEEEEEESG_NS4_IlLl4152EEEEEKNS1_INS2_IJNS3_INS2_IJNS4_IiLi32EEES6_NS4_IiLi2EEEEEENS2_IJNS4_IiLi130EEESM_S9_EEELb0EEEEEESF_SH_SG_NS4_IlLl4158EEEEELi32ELi8ELi2ELi2ELi8EE6NWavesE ; @_ZN2ck45BlockwiseGemmDpp_ak0mak1_bk0nbk1_m0n0m1n1m2n2ILi128EDF16_fKNS_16TensorDescriptorINS_5TupleIJNS_5EmbedINS2_IJNS_17integral_constantIiLi8EEENS4_IiLi64EEES5_EEENS2_IJNS4_IiLi520EEES5_NS4_IiLi1EEEEEELb0EEEEEENS2_IJNS_8SequenceIJLi0EEEEEEENS2_IJNSD_IJLi1ELi2ELi3EEEEEEESG_NS4_IlLl4152EEEEEKNS1_INS2_IJNS3_INS2_IJNS4_IiLi32EEES6_NS4_IiLi2EEEEEENS2_IJNS4_IiLi130EEESM_S9_EEELb0EEEEEESF_SH_SG_NS4_IlLl4158EEEEELi32ELi8ELi2ELi2ELi8EE6NWavesE
	.type	_ZN2ck45BlockwiseGemmDpp_ak0mak1_bk0nbk1_m0n0m1n1m2n2ILi128EDF16_fKNS_16TensorDescriptorINS_5TupleIJNS_5EmbedINS2_IJNS_17integral_constantIiLi8EEENS4_IiLi64EEES5_EEENS2_IJNS4_IiLi520EEES5_NS4_IiLi1EEEEEELb0EEEEEENS2_IJNS_8SequenceIJLi0EEEEEEENS2_IJNSD_IJLi1ELi2ELi3EEEEEEESG_NS4_IlLl4152EEEEEKNS1_INS2_IJNS3_INS2_IJNS4_IiLi32EEES6_NS4_IiLi2EEEEEENS2_IJNS4_IiLi130EEESM_S9_EEELb0EEEEEESF_SH_SG_NS4_IlLl4158EEEEELi32ELi8ELi2ELi2ELi8EE6NWavesE,@object
	.section	.rodata._ZN2ck45BlockwiseGemmDpp_ak0mak1_bk0nbk1_m0n0m1n1m2n2ILi128EDF16_fKNS_16TensorDescriptorINS_5TupleIJNS_5EmbedINS2_IJNS_17integral_constantIiLi8EEENS4_IiLi64EEES5_EEENS2_IJNS4_IiLi520EEES5_NS4_IiLi1EEEEEELb0EEEEEENS2_IJNS_8SequenceIJLi0EEEEEEENS2_IJNSD_IJLi1ELi2ELi3EEEEEEESG_NS4_IlLl4152EEEEEKNS1_INS2_IJNS3_INS2_IJNS4_IiLi32EEES6_NS4_IiLi2EEEEEENS2_IJNS4_IiLi130EEESM_S9_EEELb0EEEEEESF_SH_SG_NS4_IlLl4158EEEEELi32ELi8ELi2ELi2ELi8EE6NWavesE,"aG",@progbits,_ZN2ck45BlockwiseGemmDpp_ak0mak1_bk0nbk1_m0n0m1n1m2n2ILi128EDF16_fKNS_16TensorDescriptorINS_5TupleIJNS_5EmbedINS2_IJNS_17integral_constantIiLi8EEENS4_IiLi64EEES5_EEENS2_IJNS4_IiLi520EEES5_NS4_IiLi1EEEEEELb0EEEEEENS2_IJNS_8SequenceIJLi0EEEEEEENS2_IJNSD_IJLi1ELi2ELi3EEEEEEESG_NS4_IlLl4152EEEEEKNS1_INS2_IJNS3_INS2_IJNS4_IiLi32EEES6_NS4_IiLi2EEEEEENS2_IJNS4_IiLi130EEESM_S9_EEELb0EEEEEESF_SH_SG_NS4_IlLl4158EEEEELi32ELi8ELi2ELi2ELi8EE6NWavesE,comdat
	.weak	_ZN2ck45BlockwiseGemmDpp_ak0mak1_bk0nbk1_m0n0m1n1m2n2ILi128EDF16_fKNS_16TensorDescriptorINS_5TupleIJNS_5EmbedINS2_IJNS_17integral_constantIiLi8EEENS4_IiLi64EEES5_EEENS2_IJNS4_IiLi520EEES5_NS4_IiLi1EEEEEELb0EEEEEENS2_IJNS_8SequenceIJLi0EEEEEEENS2_IJNSD_IJLi1ELi2ELi3EEEEEEESG_NS4_IlLl4152EEEEEKNS1_INS2_IJNS3_INS2_IJNS4_IiLi32EEES6_NS4_IiLi2EEEEEENS2_IJNS4_IiLi130EEESM_S9_EEELb0EEEEEESF_SH_SG_NS4_IlLl4158EEEEELi32ELi8ELi2ELi2ELi8EE6NWavesE
	.p2align	2, 0x0
_ZN2ck45BlockwiseGemmDpp_ak0mak1_bk0nbk1_m0n0m1n1m2n2ILi128EDF16_fKNS_16TensorDescriptorINS_5TupleIJNS_5EmbedINS2_IJNS_17integral_constantIiLi8EEENS4_IiLi64EEES5_EEENS2_IJNS4_IiLi520EEES5_NS4_IiLi1EEEEEELb0EEEEEENS2_IJNS_8SequenceIJLi0EEEEEEENS2_IJNSD_IJLi1ELi2ELi3EEEEEEESG_NS4_IlLl4152EEEEEKNS1_INS2_IJNS3_INS2_IJNS4_IiLi32EEES6_NS4_IiLi2EEEEEENS2_IJNS4_IiLi130EEESM_S9_EEELb0EEEEEESF_SH_SG_NS4_IlLl4158EEEEELi32ELi8ELi2ELi2ELi8EE6NWavesE:
	.long	4                               ; 0x4
	.size	_ZN2ck45BlockwiseGemmDpp_ak0mak1_bk0nbk1_m0n0m1n1m2n2ILi128EDF16_fKNS_16TensorDescriptorINS_5TupleIJNS_5EmbedINS2_IJNS_17integral_constantIiLi8EEENS4_IiLi64EEES5_EEENS2_IJNS4_IiLi520EEES5_NS4_IiLi1EEEEEELb0EEEEEENS2_IJNS_8SequenceIJLi0EEEEEEENS2_IJNSD_IJLi1ELi2ELi3EEEEEEESG_NS4_IlLl4152EEEEEKNS1_INS2_IJNS3_INS2_IJNS4_IiLi32EEES6_NS4_IiLi2EEEEEENS2_IJNS4_IiLi130EEESM_S9_EEELb0EEEEEESF_SH_SG_NS4_IlLl4158EEEEELi32ELi8ELi2ELi2ELi8EE6NWavesE, 4

	.type	__hip_cuid_ff55d705c221644d,@object ; @__hip_cuid_ff55d705c221644d
	.section	.bss,"aw",@nobits
	.globl	__hip_cuid_ff55d705c221644d
__hip_cuid_ff55d705c221644d:
	.byte	0                               ; 0x0
	.size	__hip_cuid_ff55d705c221644d, 1

	.ident	"AMD clang version 22.0.0git (https://github.com/RadeonOpenCompute/llvm-project roc-7.2.4 26084 f58b06dce1f9c15707c5f808fd002e18c2accf7e)"
	.section	".note.GNU-stack","",@progbits
	.addrsig
	.addrsig_sym __hip_cuid_ff55d705c221644d
	.amdgpu_metadata
---
amdhsa.kernels:
  - .args:           []
    .group_segment_fixed_size: 0
    .kernarg_segment_align: 4
    .kernarg_segment_size: 0
    .language:       OpenCL C
    .language_version:
      - 2
      - 0
    .max_flat_workgroup_size: 1024
    .name:           _ZN2ckL12flush_icacheEv
    .private_segment_fixed_size: 0
    .sgpr_count:     0
    .sgpr_spill_count: 0
    .symbol:         _ZN2ckL12flush_icacheEv.kd
    .uniform_work_group_size: 1
    .uses_dynamic_stack: false
    .vgpr_count:     0
    .vgpr_spill_count: 0
    .wavefront_size: 32
    .workgroup_processor_mode: 1
  - .args:
      - .offset:         0
        .size:           80
        .value_kind:     by_value
    .group_segment_fixed_size: 16624
    .kernarg_segment_align: 8
    .kernarg_segment_size: 80
    .language:       OpenCL C
    .language_version:
      - 2
      - 0
    .max_flat_workgroup_size: 256
    .name:           _ZN2ck15kernel_gemm_dppINS_35GridwiseGemm_ak0mak1_bk0nbk1_mn_dppILi128EDF16_fDF16_LNS_25InMemoryDataOperationEnumE0ENS_13tensor_layout4gemm8RowMajorENS4_11ColumnMajorES5_NS_16tensor_operation12element_wise11PassThroughES9_S9_LNS7_6device18GemmSpecializationE4ELi64ELi64ELi64ELi32ELi8ELi8ELi2ELi2ELi2ENS_8SequenceIJLi4ELi32ELi1EEEENSC_IJLi1ELi0ELi2EEEESE_Li2ELi8ELi8ELb0ELb1ESD_SE_SE_Li2ELi2ELi2ELb0ELb1ENSC_IJLi0ELi2ELi4ELi1ELi3ELi5EEEELi5ELi1ELi1ELNS_15PipelineVersionE0EEELb1EEEvNT_8ArgumentE
    .private_segment_fixed_size: 692
    .sgpr_count:     41
    .sgpr_spill_count: 0
    .symbol:         _ZN2ck15kernel_gemm_dppINS_35GridwiseGemm_ak0mak1_bk0nbk1_mn_dppILi128EDF16_fDF16_LNS_25InMemoryDataOperationEnumE0ENS_13tensor_layout4gemm8RowMajorENS4_11ColumnMajorES5_NS_16tensor_operation12element_wise11PassThroughES9_S9_LNS7_6device18GemmSpecializationE4ELi64ELi64ELi64ELi32ELi8ELi8ELi2ELi2ELi2ENS_8SequenceIJLi4ELi32ELi1EEEENSC_IJLi1ELi0ELi2EEEESE_Li2ELi8ELi8ELb0ELb1ESD_SE_SE_Li2ELi2ELi2ELb0ELb1ENSC_IJLi0ELi2ELi4ELi1ELi3ELi5EEEELi5ELi1ELi1ELNS_15PipelineVersionE0EEELb1EEEvNT_8ArgumentE.kd
    .uniform_work_group_size: 1
    .uses_dynamic_stack: false
    .vgpr_count:     256
    .vgpr_spill_count: 228
    .wavefront_size: 32
    .workgroup_processor_mode: 1
  - .args:
      - .offset:         0
        .size:           80
        .value_kind:     by_value
    .group_segment_fixed_size: 16624
    .kernarg_segment_align: 8
    .kernarg_segment_size: 80
    .language:       OpenCL C
    .language_version:
      - 2
      - 0
    .max_flat_workgroup_size: 256
    .name:           _ZN2ck15kernel_gemm_dppINS_35GridwiseGemm_ak0mak1_bk0nbk1_mn_dppILi128EDF16_fDF16_LNS_25InMemoryDataOperationEnumE0ENS_13tensor_layout4gemm8RowMajorENS4_11ColumnMajorES5_NS_16tensor_operation12element_wise11PassThroughES9_S9_LNS7_6device18GemmSpecializationE4ELi64ELi64ELi64ELi32ELi8ELi8ELi2ELi2ELi2ENS_8SequenceIJLi4ELi32ELi1EEEENSC_IJLi1ELi0ELi2EEEESE_Li2ELi8ELi8ELb0ELb1ESD_SE_SE_Li2ELi2ELi2ELb0ELb1ENSC_IJLi0ELi2ELi4ELi1ELi3ELi5EEEELi5ELi1ELi1ELNS_15PipelineVersionE0EEELb0EEEvNT_8ArgumentE
    .private_segment_fixed_size: 408
    .sgpr_count:     28
    .sgpr_spill_count: 0
    .symbol:         _ZN2ck15kernel_gemm_dppINS_35GridwiseGemm_ak0mak1_bk0nbk1_mn_dppILi128EDF16_fDF16_LNS_25InMemoryDataOperationEnumE0ENS_13tensor_layout4gemm8RowMajorENS4_11ColumnMajorES5_NS_16tensor_operation12element_wise11PassThroughES9_S9_LNS7_6device18GemmSpecializationE4ELi64ELi64ELi64ELi32ELi8ELi8ELi2ELi2ELi2ENS_8SequenceIJLi4ELi32ELi1EEEENSC_IJLi1ELi0ELi2EEEESE_Li2ELi8ELi8ELb0ELb1ESD_SE_SE_Li2ELi2ELi2ELb0ELb1ENSC_IJLi0ELi2ELi4ELi1ELi3ELi5EEEELi5ELi1ELi1ELNS_15PipelineVersionE0EEELb0EEEvNT_8ArgumentE.kd
    .uniform_work_group_size: 1
    .uses_dynamic_stack: false
    .vgpr_count:     256
    .vgpr_spill_count: 144
    .wavefront_size: 32
    .workgroup_processor_mode: 1
  - .args:
      - .actual_access:  read_only
        .address_space:  global
        .offset:         0
        .size:           8
        .value_kind:     global_buffer
      - .actual_access:  read_only
        .address_space:  global
        .offset:         8
        .size:           8
        .value_kind:     global_buffer
      - .actual_access:  write_only
        .address_space:  global
        .offset:         16
        .size:           8
        .value_kind:     global_buffer
      - .offset:         24
        .size:           4
        .value_kind:     by_value
      - .offset:         28
        .size:           4
        .value_kind:     by_value
      - .offset:         32
        .size:           4
        .value_kind:     by_value
      - .offset:         36
        .size:           1
        .value_kind:     by_value
      - .offset:         37
        .size:           1
        .value_kind:     by_value
      - .offset:         38
        .size:           1
        .value_kind:     by_value
      - .offset:         40
        .size:           4
        .value_kind:     hidden_block_count_x
      - .offset:         44
        .size:           4
        .value_kind:     hidden_block_count_y
      - .offset:         48
        .size:           4
        .value_kind:     hidden_block_count_z
      - .offset:         52
        .size:           2
        .value_kind:     hidden_group_size_x
      - .offset:         54
        .size:           2
        .value_kind:     hidden_group_size_y
      - .offset:         56
        .size:           2
        .value_kind:     hidden_group_size_z
      - .offset:         58
        .size:           2
        .value_kind:     hidden_remainder_x
      - .offset:         60
        .size:           2
        .value_kind:     hidden_remainder_y
      - .offset:         62
        .size:           2
        .value_kind:     hidden_remainder_z
      - .offset:         80
        .size:           8
        .value_kind:     hidden_global_offset_x
      - .offset:         88
        .size:           8
        .value_kind:     hidden_global_offset_y
      - .offset:         96
        .size:           8
        .value_kind:     hidden_global_offset_z
      - .offset:         104
        .size:           2
        .value_kind:     hidden_grid_dims
    .group_segment_fixed_size: 0
    .kernarg_segment_align: 8
    .kernarg_segment_size: 296
    .language:       OpenCL C
    .language_version:
      - 2
      - 0
    .max_flat_workgroup_size: 256
    .name:           _ZN2ck17naive_gemm_kernelINS_13tensor_layout4gemm8RowMajorENS2_11ColumnMajorES3_DF16_DF16_DF16_fNS_16tensor_operation12element_wise11PassThroughES7_S7_DF16_DF16_EEvPKT2_PKT3_PT4_iiiT6_T7_T8_
    .private_segment_fixed_size: 0
    .sgpr_count:     14
    .sgpr_spill_count: 0
    .symbol:         _ZN2ck17naive_gemm_kernelINS_13tensor_layout4gemm8RowMajorENS2_11ColumnMajorES3_DF16_DF16_DF16_fNS_16tensor_operation12element_wise11PassThroughES7_S7_DF16_DF16_EEvPKT2_PKT3_PT4_iiiT6_T7_T8_.kd
    .uniform_work_group_size: 1
    .uses_dynamic_stack: false
    .vgpr_count:     9
    .vgpr_spill_count: 0
    .wavefront_size: 32
    .workgroup_processor_mode: 1
amdhsa.target:   amdgcn-amd-amdhsa--gfx1201
amdhsa.version:
  - 1
  - 2
...

	.end_amdgpu_metadata
